;; amdgpu-corpus repo=ROCm/rocFFT kind=compiled arch=gfx1030 opt=O3
	.text
	.amdgcn_target "amdgcn-amd-amdhsa--gfx1030"
	.amdhsa_code_object_version 6
	.protected	bluestein_single_back_len2400_dim1_dp_op_CI_CI ; -- Begin function bluestein_single_back_len2400_dim1_dp_op_CI_CI
	.globl	bluestein_single_back_len2400_dim1_dp_op_CI_CI
	.p2align	8
	.type	bluestein_single_back_len2400_dim1_dp_op_CI_CI,@function
bluestein_single_back_len2400_dim1_dp_op_CI_CI: ; @bluestein_single_back_len2400_dim1_dp_op_CI_CI
; %bb.0:
	s_load_dwordx4 s[8:11], s[4:5], 0x28
	v_mul_u32_u24_e32 v1, 0x112, v0
	v_mov_b32_e32 v193, 0
	s_mov_b32 s0, exec_lo
	v_lshrrev_b32_e32 v1, 16, v1
	v_add_nc_u32_e32 v192, s6, v1
	s_waitcnt lgkmcnt(0)
	v_cmpx_gt_u64_e64 s[8:9], v[192:193]
	s_cbranch_execz .LBB0_23
; %bb.1:
	s_clause 0x1
	s_load_dwordx4 s[0:3], s[4:5], 0x18
	s_load_dwordx2 s[6:7], s[4:5], 0x0
	v_mul_lo_u16 v1, 0xf0, v1
	v_sub_nc_u16 v98, v0, v1
	v_and_b32_e32 v196, 0xffff, v98
	v_lshlrev_b32_e32 v193, 4, v196
	s_waitcnt lgkmcnt(0)
	s_load_dwordx4 s[12:15], s[0:1], 0x0
	v_add_co_u32 v194, s0, s6, v193
	v_add_co_ci_u32_e64 v195, null, s7, 0, s0
	global_load_dwordx4 v[0:3], v193, s[6:7]
	v_add_co_u32 v4, vcc_lo, 0x2000, v194
	v_add_co_ci_u32_e32 v5, vcc_lo, 0, v195, vcc_lo
	v_add_co_u32 v6, vcc_lo, 0x4800, v194
	v_add_co_ci_u32_e32 v7, vcc_lo, 0, v195, vcc_lo
	global_load_dwordx4 v[20:23], v[4:5], off offset:1408
	v_add_co_u32 v8, vcc_lo, 0x7000, v194
	v_add_co_ci_u32_e32 v9, vcc_lo, 0, v195, vcc_lo
	s_waitcnt lgkmcnt(0)
	v_mad_u64_u32 v[24:25], null, s14, v192, 0
	v_mad_u64_u32 v[28:29], null, s12, v196, 0
	v_add_co_u32 v10, vcc_lo, 0x800, v194
	v_add_co_ci_u32_e32 v11, vcc_lo, 0, v195, vcc_lo
	v_mov_b32_e32 v12, v25
	v_add_co_u32 v26, vcc_lo, 0x3000, v194
	v_mov_b32_e32 v4, v29
	v_add_co_ci_u32_e32 v27, vcc_lo, 0, v195, vcc_lo
	v_mad_u64_u32 v[32:33], null, s15, v192, v[12:13]
	v_mad_u64_u32 v[33:34], null, s13, v196, v[4:5]
	v_add_co_u32 v30, vcc_lo, 0x5800, v194
	v_add_co_ci_u32_e32 v31, vcc_lo, 0, v195, vcc_lo
	v_mov_b32_e32 v25, v32
	v_add_co_u32 v62, vcc_lo, 0x7800, v194
	v_mov_b32_e32 v29, v33
	v_add_co_ci_u32_e32 v63, vcc_lo, 0, v195, vcc_lo
	v_lshlrev_b64 v[24:25], 4, v[24:25]
	s_clause 0x3
	global_load_dwordx4 v[16:19], v[6:7], off offset:768
	global_load_dwordx4 v[12:15], v[8:9], off offset:128
	;; [unrolled: 1-line block ×4, first 2 shown]
	v_lshlrev_b64 v[26:27], 4, v[28:29]
	s_mul_i32 s1, s13, 0x258
	s_mul_hi_u32 s7, s12, 0x258
	v_add_co_u32 v24, vcc_lo, s10, v24
	v_add_co_ci_u32_e32 v25, vcc_lo, s11, v25, vcc_lo
	s_mul_i32 s0, s12, 0x258
	v_add_co_u32 v24, vcc_lo, v24, v26
	s_mul_hi_u32 s9, s12, 0xfffff9e8
	s_add_i32 s1, s7, s1
	v_add_co_ci_u32_e32 v25, vcc_lo, v25, v27, vcc_lo
	s_mul_i32 s8, s13, 0xfffff9e8
	s_mul_i32 s6, s12, 0xfffff9e8
	s_sub_i32 s7, s9, s12
	s_lshl_b64 s[12:13], s[0:1], 4
	s_add_i32 s7, s7, s8
	v_add_co_u32 v26, vcc_lo, v24, s12
	v_add_co_ci_u32_e32 v27, vcc_lo, s13, v25, vcc_lo
	s_lshl_b64 s[0:1], s[6:7], 4
	v_add_co_u32 v28, vcc_lo, v26, s12
	v_add_co_ci_u32_e32 v29, vcc_lo, s13, v27, vcc_lo
	s_clause 0x1
	global_load_dwordx4 v[34:37], v[24:25], off
	global_load_dwordx4 v[38:41], v[26:27], off
	v_add_co_u32 v32, vcc_lo, v28, s12
	v_add_co_ci_u32_e32 v33, vcc_lo, s13, v29, vcc_lo
	global_load_dwordx4 v[42:45], v[28:29], off
	v_add_co_u32 v24, vcc_lo, v32, s0
	v_add_co_ci_u32_e32 v25, vcc_lo, s1, v33, vcc_lo
	global_load_dwordx4 v[46:49], v[32:33], off
	v_add_co_u32 v26, vcc_lo, v24, s12
	global_load_dwordx4 v[50:53], v[24:25], off
	v_add_co_ci_u32_e32 v27, vcc_lo, s13, v25, vcc_lo
	v_add_co_u32 v28, vcc_lo, v26, s12
	v_add_co_ci_u32_e32 v29, vcc_lo, s13, v27, vcc_lo
	v_add_co_u32 v32, vcc_lo, v28, s12
	v_add_co_ci_u32_e32 v33, vcc_lo, s13, v29, vcc_lo
	global_load_dwordx4 v[54:57], v[26:27], off
	global_load_dwordx4 v[58:61], v[28:29], off
	s_clause 0x1
	global_load_dwordx4 v[24:27], v[30:31], off offset:512
	global_load_dwordx4 v[28:31], v[62:63], off offset:1920
	global_load_dwordx4 v[62:65], v[32:33], off
	s_load_dwordx2 s[6:7], s[4:5], 0x38
	s_load_dwordx4 s[8:11], s[2:3], 0x0
	v_cmp_gt_u16_e32 vcc_lo, 0x78, v98
	s_waitcnt vmcnt(9)
	v_mul_f64 v[66:67], v[36:37], v[2:3]
	v_mul_f64 v[68:69], v[34:35], v[2:3]
	s_waitcnt vmcnt(8)
	v_mul_f64 v[70:71], v[40:41], v[22:23]
	v_mul_f64 v[72:73], v[38:39], v[22:23]
	;; [unrolled: 3-line block ×5, first 2 shown]
	v_fma_f64 v[34:35], v[34:35], v[0:1], v[66:67]
	s_waitcnt vmcnt(4)
	v_mul_f64 v[86:87], v[56:57], v[6:7]
	v_mul_f64 v[88:89], v[54:55], v[6:7]
	s_waitcnt vmcnt(2)
	v_mul_f64 v[90:91], v[60:61], v[26:27]
	v_mul_f64 v[92:93], v[58:59], v[26:27]
	s_waitcnt vmcnt(0)
	v_mul_f64 v[94:95], v[64:65], v[30:31]
	v_mul_f64 v[96:97], v[62:63], v[30:31]
	v_fma_f64 v[36:37], v[36:37], v[0:1], -v[68:69]
	v_fma_f64 v[38:39], v[38:39], v[20:21], v[70:71]
	v_fma_f64 v[40:41], v[40:41], v[20:21], -v[72:73]
	v_fma_f64 v[42:43], v[42:43], v[16:17], v[74:75]
	v_fma_f64 v[44:45], v[44:45], v[16:17], -v[76:77]
	v_fma_f64 v[46:47], v[46:47], v[12:13], v[78:79]
	v_fma_f64 v[48:49], v[48:49], v[12:13], -v[80:81]
	v_fma_f64 v[50:51], v[50:51], v[8:9], v[82:83]
	v_fma_f64 v[52:53], v[52:53], v[8:9], -v[84:85]
	ds_write_b128 v193, v[34:37]
	ds_write_b128 v193, v[38:41] offset:9600
	ds_write_b128 v193, v[42:45] offset:19200
	;; [unrolled: 1-line block ×3, first 2 shown]
	v_fma_f64 v[54:55], v[54:55], v[4:5], v[86:87]
	v_fma_f64 v[56:57], v[56:57], v[4:5], -v[88:89]
	v_fma_f64 v[58:59], v[58:59], v[24:25], v[90:91]
	v_fma_f64 v[60:61], v[60:61], v[24:25], -v[92:93]
	;; [unrolled: 2-line block ×3, first 2 shown]
	ds_write_b128 v193, v[50:53] offset:3840
	ds_write_b128 v193, v[54:57] offset:13440
	;; [unrolled: 1-line block ×4, first 2 shown]
	s_and_saveexec_b32 s2, vcc_lo
	s_cbranch_execz .LBB0_3
; %bb.2:
	v_add_co_u32 v32, s0, v32, s0
	v_add_co_ci_u32_e64 v33, s0, s1, v33, s0
	v_add_co_u32 v36, s0, 0x1800, v194
	v_add_co_ci_u32_e64 v37, s0, 0, v195, s0
	;; [unrolled: 2-line block ×7, first 2 shown]
	v_add_co_u32 v60, s0, v48, s12
	global_load_dwordx4 v[32:35], v[32:33], off
	global_load_dwordx4 v[36:39], v[36:37], off offset:1536
	global_load_dwordx4 v[40:43], v[44:45], off
	v_add_co_ci_u32_e64 v61, s0, s13, v49, s0
	global_load_dwordx4 v[44:47], v[46:47], off offset:896
	global_load_dwordx4 v[48:51], v[48:49], off
	s_clause 0x1
	global_load_dwordx4 v[52:55], v[52:53], off offset:256
	global_load_dwordx4 v[56:59], v[56:57], off offset:1664
	global_load_dwordx4 v[60:63], v[60:61], off
	s_waitcnt vmcnt(6)
	v_mul_f64 v[64:65], v[34:35], v[38:39]
	v_mul_f64 v[38:39], v[32:33], v[38:39]
	s_waitcnt vmcnt(4)
	v_mul_f64 v[66:67], v[42:43], v[46:47]
	v_mul_f64 v[46:47], v[40:41], v[46:47]
	;; [unrolled: 3-line block ×4, first 2 shown]
	v_fma_f64 v[32:33], v[32:33], v[36:37], v[64:65]
	v_fma_f64 v[34:35], v[34:35], v[36:37], -v[38:39]
	v_fma_f64 v[36:37], v[40:41], v[44:45], v[66:67]
	v_fma_f64 v[38:39], v[42:43], v[44:45], -v[46:47]
	;; [unrolled: 2-line block ×4, first 2 shown]
	ds_write_b128 v193, v[32:35] offset:7680
	ds_write_b128 v193, v[36:39] offset:17280
	;; [unrolled: 1-line block ×4, first 2 shown]
.LBB0_3:
	s_or_b32 exec_lo, exec_lo, s2
	s_waitcnt lgkmcnt(0)
	s_barrier
	buffer_gl0_inv
	ds_read_b128 v[32:35], v193
	ds_read_b128 v[36:39], v193 offset:3840
	ds_read_b128 v[44:47], v193 offset:9600
	;; [unrolled: 1-line block ×7, first 2 shown]
                                        ; implicit-def: $vgpr52_vgpr53
                                        ; implicit-def: $vgpr56_vgpr57
                                        ; implicit-def: $vgpr64_vgpr65
                                        ; implicit-def: $vgpr48_vgpr49
	s_and_saveexec_b32 s0, vcc_lo
	s_cbranch_execz .LBB0_5
; %bb.4:
	ds_read_b128 v[48:51], v193 offset:17280
	ds_read_b128 v[64:67], v193 offset:26880
	;; [unrolled: 1-line block ×4, first 2 shown]
.LBB0_5:
	s_or_b32 exec_lo, exec_lo, s0
	s_waitcnt lgkmcnt(3)
	v_add_f64 v[76:77], v[32:33], -v[76:77]
	v_add_f64 v[78:79], v[34:35], -v[78:79]
	s_waitcnt lgkmcnt(1)
	v_add_f64 v[72:73], v[44:45], -v[72:73]
	v_add_f64 v[74:75], v[46:47], -v[74:75]
	;; [unrolled: 1-line block ×4, first 2 shown]
	s_waitcnt lgkmcnt(0)
	v_add_f64 v[80:81], v[40:41], -v[60:61]
	v_add_f64 v[82:83], v[42:43], -v[62:63]
	;; [unrolled: 1-line block ×6, first 2 shown]
	s_load_dwordx2 s[2:3], s[4:5], 0x8
	v_add_co_u32 v104, null, 0xf0, v196
	s_waitcnt lgkmcnt(0)
	s_barrier
	buffer_gl0_inv
	v_lshlrev_b32_e32 v199, 6, v104
	v_fma_f64 v[64:65], v[32:33], 2.0, -v[76:77]
	v_fma_f64 v[66:67], v[34:35], 2.0, -v[78:79]
	;; [unrolled: 1-line block ×8, first 2 shown]
	v_add_f64 v[36:37], v[76:77], -v[74:75]
	v_add_f64 v[38:39], v[78:79], v[72:73]
	v_fma_f64 v[32:33], v[52:53], 2.0, -v[60:61]
	v_fma_f64 v[34:35], v[54:55], 2.0, -v[62:63]
	;; [unrolled: 1-line block ×4, first 2 shown]
	v_add_f64 v[40:41], v[68:69], -v[82:83]
	v_add_f64 v[42:43], v[70:71], v[80:81]
	v_add_f64 v[148:149], v[60:61], -v[58:59]
	v_add_f64 v[150:151], v[62:63], v[56:57]
	v_add_f64 v[44:45], v[64:65], -v[44:45]
	v_add_f64 v[46:47], v[66:67], -v[46:47]
	;; [unrolled: 1-line block ×4, first 2 shown]
	v_fma_f64 v[48:49], v[76:77], 2.0, -v[36:37]
	v_fma_f64 v[50:51], v[78:79], 2.0, -v[38:39]
	v_add_f64 v[144:145], v[32:33], -v[72:73]
	v_add_f64 v[146:147], v[34:35], -v[74:75]
	v_fma_f64 v[56:57], v[68:69], 2.0, -v[40:41]
	v_fma_f64 v[58:59], v[70:71], 2.0, -v[42:43]
	v_lshlrev_b16 v72, 2, v196
	v_mov_b32_e32 v73, 4
	v_add_co_u32 v74, null, 0x1e0, v196
	v_lshlrev_b32_sdwa v198, v73, v72 dst_sel:DWORD dst_unused:UNUSED_PAD src0_sel:DWORD src1_sel:WORD_0
	v_lshlrev_b32_e32 v197, 6, v74
	v_fma_f64 v[64:65], v[64:65], 2.0, -v[44:45]
	v_fma_f64 v[66:67], v[66:67], 2.0, -v[46:47]
	;; [unrolled: 1-line block ×4, first 2 shown]
	ds_write_b128 v198, v[36:39] offset:48
	ds_write_b128 v198, v[48:51] offset:16
	;; [unrolled: 1-line block ×5, first 2 shown]
	ds_write_b128 v198, v[64:67]
	ds_write_b128 v199, v[68:71]
	ds_write_b128 v199, v[40:43] offset:48
	s_and_saveexec_b32 s0, vcc_lo
	s_cbranch_execz .LBB0_7
; %bb.6:
	v_fma_f64 v[40:41], v[34:35], 2.0, -v[146:147]
	v_fma_f64 v[38:39], v[32:33], 2.0, -v[144:145]
	;; [unrolled: 1-line block ×4, first 2 shown]
	ds_write_b128 v197, v[144:147] offset:32
	ds_write_b128 v197, v[38:41]
	ds_write_b128 v197, v[34:37] offset:16
	ds_write_b128 v197, v[148:151] offset:48
.LBB0_7:
	s_or_b32 exec_lo, exec_lo, s0
	v_and_b32_e32 v68, 3, v196
	s_waitcnt lgkmcnt(0)
	s_barrier
	buffer_gl0_inv
	s_mov_b32 s0, 0x134454ff
	v_mad_u64_u32 v[52:53], null, 0x90, v68, s[2:3]
	s_mov_b32 s1, 0x3fee6f0e
	s_mov_b32 s15, 0xbfee6f0e
	;; [unrolled: 1-line block ×6, first 2 shown]
	s_clause 0x8
	global_load_dwordx4 v[36:39], v[52:53], off offset:32
	global_load_dwordx4 v[44:47], v[52:53], off offset:64
	;; [unrolled: 1-line block ×4, first 2 shown]
	global_load_dwordx4 v[32:35], v[52:53], off
	global_load_dwordx4 v[64:67], v[52:53], off offset:16
	global_load_dwordx4 v[60:63], v[52:53], off offset:48
	;; [unrolled: 1-line block ×4, first 2 shown]
	ds_read_b128 v[69:72], v193 offset:11520
	ds_read_b128 v[73:76], v193 offset:19200
	;; [unrolled: 1-line block ×9, first 2 shown]
	ds_read_b128 v[109:112], v193
	s_mov_b32 s16, s4
	s_mov_b32 s12, 0x372fe950
	;; [unrolled: 1-line block ×5, first 2 shown]
	v_and_b32_e32 v103, 0xff, v196
	s_waitcnt vmcnt(0) lgkmcnt(0)
	s_barrier
	buffer_gl0_inv
	v_mov_b32_e32 v143, 0x190
	v_mul_lo_u16 v103, 0xcd, v103
	v_mul_f64 v[101:102], v[71:72], v[38:39]
	v_mul_f64 v[113:114], v[69:70], v[38:39]
	;; [unrolled: 1-line block ×17, first 2 shown]
	v_fma_f64 v[69:70], v[69:70], v[36:37], -v[101:102]
	v_fma_f64 v[71:72], v[71:72], v[36:37], v[113:114]
	v_fma_f64 v[73:74], v[73:74], v[44:45], -v[115:116]
	v_fma_f64 v[75:76], v[75:76], v[44:45], v[117:118]
	v_fma_f64 v[79:80], v[79:80], v[40:41], v[119:120]
	;; [unrolled: 1-line block ×3, first 2 shown]
	v_fma_f64 v[81:82], v[81:82], v[48:49], -v[123:124]
	v_fma_f64 v[77:78], v[77:78], v[40:41], -v[125:126]
	v_mul_f64 v[101:102], v[107:108], v[54:55]
	v_fma_f64 v[85:86], v[85:86], v[32:33], -v[127:128]
	v_fma_f64 v[87:88], v[87:88], v[32:33], v[129:130]
	v_fma_f64 v[89:90], v[89:90], v[64:65], -v[131:132]
	v_fma_f64 v[91:92], v[91:92], v[64:65], v[133:134]
	;; [unrolled: 2-line block ×4, first 2 shown]
	v_fma_f64 v[99:100], v[99:100], v[56:57], v[152:153]
	v_add_f64 v[162:163], v[69:70], -v[73:74]
	v_add_f64 v[166:167], v[73:74], -v[69:70]
	v_add_f64 v[113:114], v[75:76], v[79:80]
	v_add_f64 v[115:116], v[71:72], v[83:84]
	;; [unrolled: 1-line block ×4, first 2 shown]
	v_fma_f64 v[101:102], v[105:106], v[52:53], -v[101:102]
	v_add_f64 v[127:128], v[71:72], -v[83:84]
	v_add_f64 v[129:130], v[75:76], -v[79:80]
	;; [unrolled: 1-line block ×6, first 2 shown]
	v_add_f64 v[121:122], v[93:94], v[97:98]
	v_add_f64 v[160:161], v[91:92], v[107:108]
	;; [unrolled: 1-line block ×3, first 2 shown]
	v_add_f64 v[170:171], v[71:72], -v[75:76]
	v_add_f64 v[172:173], v[83:84], -v[79:80]
	;; [unrolled: 1-line block ×4, first 2 shown]
	v_add_f64 v[105:106], v[109:110], v[89:90]
	v_add_f64 v[154:155], v[111:112], v[91:92]
	;; [unrolled: 1-line block ×4, first 2 shown]
	v_fma_f64 v[113:114], v[113:114], -0.5, v[87:88]
	v_fma_f64 v[115:116], v[115:116], -0.5, v[87:88]
	;; [unrolled: 1-line block ×4, first 2 shown]
	v_add_f64 v[139:140], v[89:90], v[101:102]
	v_add_f64 v[123:124], v[91:92], -v[107:108]
	v_add_f64 v[125:126], v[95:96], -v[99:100]
	;; [unrolled: 1-line block ×8, first 2 shown]
	v_fma_f64 v[85:86], v[121:122], -0.5, v[109:110]
	v_add_f64 v[121:122], v[162:163], v[164:165]
	v_add_f64 v[186:187], v[91:92], -v[95:96]
	v_add_f64 v[91:92], v[95:96], -v[91:92]
	;; [unrolled: 1-line block ×3, first 2 shown]
	v_add_f64 v[93:94], v[105:106], v[93:94]
	v_add_f64 v[95:96], v[154:155], v[95:96]
	;; [unrolled: 1-line block ×4, first 2 shown]
	v_fma_f64 v[178:179], v[131:132], s[14:15], v[113:114]
	v_fma_f64 v[180:181], v[133:134], s[0:1], v[115:116]
	;; [unrolled: 1-line block ×8, first 2 shown]
	v_fma_f64 v[87:88], v[139:140], -0.5, v[109:110]
	v_fma_f64 v[109:110], v[156:157], -0.5, v[111:112]
	;; [unrolled: 1-line block ×3, first 2 shown]
	v_add_f64 v[139:140], v[166:167], v[168:169]
	v_add_f64 v[156:157], v[170:171], v[172:173]
	;; [unrolled: 1-line block ×3, first 2 shown]
	v_add_f64 v[190:191], v[99:100], -v[107:108]
	v_add_f64 v[105:106], v[135:136], v[137:138]
	v_fma_f64 v[73:74], v[123:124], s[0:1], v[85:86]
	v_fma_f64 v[75:76], v[123:124], s[14:15], v[85:86]
	v_add_f64 v[93:94], v[93:94], v[97:98]
	v_add_f64 v[95:96], v[95:96], v[99:100]
	v_add_f64 v[69:70], v[69:70], v[77:78]
	v_add_f64 v[71:72], v[71:72], v[79:80]
	v_fma_f64 v[162:163], v[133:134], s[16:17], v[178:179]
	v_fma_f64 v[164:165], v[131:132], s[16:17], v[180:181]
	;; [unrolled: 1-line block ×8, first 2 shown]
	v_add_f64 v[127:128], v[141:142], v[152:153]
	v_fma_f64 v[85:86], v[125:126], s[14:15], v[87:88]
	v_fma_f64 v[87:88], v[125:126], s[0:1], v[87:88]
	;; [unrolled: 1-line block ×6, first 2 shown]
	v_add_f64 v[91:92], v[91:92], v[190:191]
	v_fma_f64 v[73:74], v[125:126], s[4:5], v[73:74]
	v_fma_f64 v[75:76], v[125:126], s[16:17], v[75:76]
	v_add_f64 v[93:94], v[93:94], v[101:102]
	v_add_f64 v[95:96], v[95:96], v[107:108]
	;; [unrolled: 1-line block ×4, first 2 shown]
	v_fma_f64 v[133:134], v[156:157], s[12:13], v[162:163]
	v_fma_f64 v[135:136], v[160:161], s[12:13], v[164:165]
	v_fma_f64 v[137:138], v[139:140], s[12:13], v[166:167]
	v_fma_f64 v[141:142], v[121:122], s[12:13], v[168:169]
	v_fma_f64 v[119:120], v[121:122], s[12:13], v[119:120]
	v_fma_f64 v[117:118], v[139:140], s[12:13], v[117:118]
	v_fma_f64 v[115:116], v[160:161], s[12:13], v[115:116]
	v_fma_f64 v[113:114], v[156:157], s[12:13], v[113:114]
	v_add_f64 v[121:122], v[186:187], v[188:189]
	v_fma_f64 v[77:78], v[123:124], s[4:5], v[85:86]
	v_fma_f64 v[79:80], v[123:124], s[16:17], v[87:88]
	;; [unrolled: 1-line block ×6, first 2 shown]
	v_lshrrev_b32_e32 v69, 2, v196
	v_fma_f64 v[101:102], v[105:106], s[12:13], v[73:74]
	v_fma_f64 v[152:153], v[105:106], s[12:13], v[75:76]
	v_lshrrev_b16 v105, 13, v103
	v_mul_u32_u24_e32 v103, 40, v69
	v_add_f64 v[69:70], v[93:94], v[81:82]
	v_mul_f64 v[99:100], v[133:134], s[4:5]
	v_mul_f64 v[109:110], v[135:136], s[0:1]
	;; [unrolled: 1-line block ×8, first 2 shown]
	v_add_f64 v[71:72], v[95:96], v[83:84]
	v_fma_f64 v[106:107], v[127:128], s[12:13], v[77:78]
	v_fma_f64 v[127:128], v[127:128], s[12:13], v[79:80]
	;; [unrolled: 1-line block ×6, first 2 shown]
	v_add_f64 v[73:74], v[93:94], -v[81:82]
	v_add_f64 v[75:76], v[95:96], -v[83:84]
	v_or_b32_e32 v68, v103, v68
	v_lshlrev_b32_e32 v200, 4, v68
	v_fma_f64 v[97:98], v[119:120], s[18:19], v[99:100]
	v_fma_f64 v[99:100], v[117:118], s[12:13], v[109:110]
	v_fma_f64 v[108:109], v[115:116], s[0:1], -v[111:112]
	v_fma_f64 v[110:111], v[113:114], s[4:5], -v[123:124]
	v_fma_f64 v[113:114], v[133:134], s[18:19], v[125:126]
	v_fma_f64 v[115:116], v[135:136], s[12:13], v[129:130]
	v_fma_f64 v[117:118], v[137:138], s[14:15], -v[131:132]
	v_fma_f64 v[119:120], v[141:142], s[16:17], -v[139:140]
	v_mul_lo_u16 v123, v105, 40
	v_mul_u32_u24_sdwa v105, v105, v143 dst_sel:DWORD dst_unused:UNUSED_PAD src0_sel:WORD_0 src1_sel:DWORD
	v_add_f64 v[77:78], v[101:102], v[97:98]
	v_add_f64 v[81:82], v[106:107], v[99:100]
	v_add_f64 v[85:86], v[127:128], v[108:109]
	v_add_f64 v[93:94], v[101:102], -v[97:98]
	v_add_f64 v[79:80], v[154:155], v[113:114]
	v_add_f64 v[83:84], v[156:157], v[115:116]
	;; [unrolled: 1-line block ×3, first 2 shown]
	v_sub_nc_u16 v101, v196, v123
	v_add_f64 v[89:90], v[152:153], v[110:111]
	v_add_f64 v[91:92], v[121:122], v[119:120]
	v_add_f64 v[95:96], v[154:155], -v[113:114]
	v_add_f64 v[97:98], v[106:107], -v[99:100]
	;; [unrolled: 1-line block ×7, first 2 shown]
	v_and_b32_e32 v106, 0xff, v101
	ds_write_b128 v200, v[69:72]
	ds_write_b128 v200, v[73:76] offset:320
	ds_write_b128 v200, v[77:80] offset:64
	;; [unrolled: 1-line block ×9, first 2 shown]
	v_mad_u64_u32 v[115:116], null, 0x90, v106, s[2:3]
	s_waitcnt lgkmcnt(0)
	s_barrier
	buffer_gl0_inv
	s_clause 0x8
	global_load_dwordx4 v[72:75], v[115:116], off offset:640
	global_load_dwordx4 v[80:83], v[115:116], off offset:608
	global_load_dwordx4 v[76:79], v[115:116], off offset:672
	global_load_dwordx4 v[84:87], v[115:116], off offset:704
	global_load_dwordx4 v[100:103], v[115:116], off offset:592
	global_load_dwordx4 v[96:99], v[115:116], off offset:624
	global_load_dwordx4 v[92:95], v[115:116], off offset:656
	global_load_dwordx4 v[88:91], v[115:116], off offset:688
	global_load_dwordx4 v[68:71], v[115:116], off offset:576
	ds_read_b128 v[107:110], v193 offset:19200
	ds_read_b128 v[111:114], v193 offset:11520
	;; [unrolled: 1-line block ×9, first 2 shown]
	ds_read_b128 v[152:155], v193
	s_waitcnt vmcnt(0) lgkmcnt(0)
	s_barrier
	buffer_gl0_inv
	v_mul_f64 v[156:157], v[109:110], v[74:75]
	v_mul_f64 v[162:163], v[107:108], v[74:75]
	;; [unrolled: 1-line block ×18, first 2 shown]
	v_fma_f64 v[107:108], v[107:108], v[72:73], -v[156:157]
	v_fma_f64 v[109:110], v[109:110], v[72:73], v[162:163]
	v_fma_f64 v[117:118], v[117:118], v[76:77], v[164:165]
	v_fma_f64 v[115:116], v[115:116], v[76:77], -v[170:171]
	v_fma_f64 v[111:112], v[111:112], v[80:81], -v[158:159]
	v_fma_f64 v[113:114], v[113:114], v[80:81], v[160:161]
	v_fma_f64 v[121:122], v[121:122], v[84:85], v[166:167]
	v_fma_f64 v[119:120], v[119:120], v[84:85], -v[168:169]
	v_fma_f64 v[139:140], v[139:140], v[68:69], -v[188:189]
	v_fma_f64 v[141:142], v[141:142], v[68:69], v[190:191]
	v_fma_f64 v[123:124], v[123:124], v[100:101], -v[172:173]
	v_fma_f64 v[125:126], v[125:126], v[100:101], v[174:175]
	;; [unrolled: 2-line block ×3, first 2 shown]
	v_fma_f64 v[131:132], v[131:132], v[92:93], -v[180:181]
	v_fma_f64 v[135:136], v[135:136], v[88:89], -v[182:183]
	v_fma_f64 v[133:134], v[133:134], v[92:93], v[184:185]
	v_fma_f64 v[137:138], v[137:138], v[88:89], v[186:187]
	v_add_f64 v[156:157], v[109:110], v[117:118]
	v_add_f64 v[162:163], v[107:108], v[115:116]
	v_add_f64 v[174:175], v[109:110], -v[117:118]
	v_add_f64 v[176:177], v[107:108], -v[115:116]
	v_add_f64 v[158:159], v[113:114], v[121:122]
	v_add_f64 v[160:161], v[111:112], v[119:120]
	v_add_f64 v[172:173], v[113:114], -v[121:122]
	v_add_f64 v[178:179], v[111:112], -v[119:120]
	;; [unrolled: 1-line block ×6, first 2 shown]
	v_add_f64 v[164:165], v[127:128], v[131:132]
	v_add_f64 v[166:167], v[123:124], v[135:136]
	;; [unrolled: 1-line block ×4, first 2 shown]
	v_add_f64 v[209:210], v[113:114], -v[109:110]
	v_add_f64 v[211:212], v[121:122], -v[117:118]
	;; [unrolled: 1-line block ×4, first 2 shown]
	v_add_f64 v[205:206], v[152:153], v[123:124]
	v_add_f64 v[207:208], v[154:155], v[125:126]
	v_fma_f64 v[156:157], v[156:157], -0.5, v[141:142]
	v_fma_f64 v[162:163], v[162:163], -0.5, v[139:140]
	v_add_f64 v[111:112], v[139:140], v[111:112]
	v_add_f64 v[113:114], v[141:142], v[113:114]
	v_fma_f64 v[158:159], v[158:159], -0.5, v[141:142]
	v_fma_f64 v[160:161], v[160:161], -0.5, v[139:140]
	v_add_f64 v[180:181], v[123:124], -v[127:128]
	v_add_f64 v[182:183], v[135:136], -v[131:132]
	;; [unrolled: 1-line block ×6, first 2 shown]
	v_fma_f64 v[164:165], v[164:165], -0.5, v[152:153]
	v_fma_f64 v[152:153], v[166:167], -0.5, v[152:153]
	;; [unrolled: 1-line block ×4, first 2 shown]
	v_add_f64 v[168:169], v[188:189], v[190:191]
	v_add_f64 v[170:171], v[201:202], v[203:204]
	;; [unrolled: 1-line block ×3, first 2 shown]
	v_add_f64 v[186:187], v[131:132], -v[135:136]
	v_add_f64 v[227:228], v[127:128], -v[131:132]
	v_add_f64 v[190:191], v[213:214], v[215:216]
	v_fma_f64 v[217:218], v[178:179], s[14:15], v[156:157]
	v_fma_f64 v[223:224], v[172:173], s[14:15], v[162:163]
	;; [unrolled: 1-line block ×8, first 2 shown]
	v_add_f64 v[141:142], v[125:126], -v[129:130]
	v_add_f64 v[125:126], v[129:130], -v[125:126]
	v_add_f64 v[127:128], v[205:206], v[127:128]
	v_add_f64 v[129:130], v[207:208], v[129:130]
	;; [unrolled: 1-line block ×4, first 2 shown]
	v_add_f64 v[229:230], v[137:138], -v[133:134]
	v_fma_f64 v[111:112], v[139:140], s[0:1], v[164:165]
	v_fma_f64 v[113:114], v[139:140], s[14:15], v[164:165]
	;; [unrolled: 1-line block ×4, first 2 shown]
	v_add_f64 v[231:232], v[133:134], -v[137:138]
	v_fma_f64 v[201:202], v[176:177], s[16:17], v[217:218]
	v_fma_f64 v[211:212], v[174:175], s[16:17], v[223:224]
	v_fma_f64 v[162:163], v[174:175], s[4:5], v[162:163]
	v_fma_f64 v[156:157], v[176:177], s[4:5], v[156:157]
	v_fma_f64 v[203:204], v[178:179], s[16:17], v[219:220]
	v_fma_f64 v[209:210], v[172:173], s[16:17], v[221:222]
	v_fma_f64 v[160:161], v[172:173], s[4:5], v[160:161]
	v_fma_f64 v[158:159], v[178:179], s[4:5], v[158:159]
	v_add_f64 v[172:173], v[180:181], v[182:183]
	v_fma_f64 v[176:177], v[123:124], s[14:15], v[166:167]
	v_add_f64 v[174:175], v[184:185], v[186:187]
	v_fma_f64 v[178:179], v[227:228], s[0:1], v[154:155]
	v_fma_f64 v[154:155], v[227:228], s[14:15], v[154:155]
	;; [unrolled: 1-line block ×3, first 2 shown]
	v_add_f64 v[127:128], v[127:128], v[131:132]
	v_add_f64 v[129:130], v[129:130], v[133:134]
	v_add_f64 v[107:108], v[107:108], v[115:116]
	v_add_f64 v[109:110], v[109:110], v[117:118]
	v_add_f64 v[141:142], v[141:142], v[229:230]
	v_fma_f64 v[111:112], v[225:226], s[4:5], v[111:112]
	v_fma_f64 v[117:118], v[139:140], s[16:17], v[152:153]
	v_add_f64 v[125:126], v[125:126], v[231:232]
	v_fma_f64 v[180:181], v[188:189], s[12:13], v[201:202]
	v_fma_f64 v[186:187], v[168:169], s[12:13], v[211:212]
	;; [unrolled: 1-line block ×14, first 2 shown]
	v_add_f64 v[127:128], v[127:128], v[135:136]
	v_add_f64 v[129:130], v[129:130], v[137:138]
	;; [unrolled: 1-line block ×4, first 2 shown]
	v_add_lshl_u32 v201, v105, v106, 4
	v_fma_f64 v[135:136], v[172:173], s[12:13], v[111:112]
	v_mul_f64 v[152:153], v[180:181], s[4:5]
	v_mul_f64 v[166:167], v[186:187], s[18:19]
	;; [unrolled: 1-line block ×8, first 2 shown]
	v_fma_f64 v[137:138], v[172:173], s[12:13], v[113:114]
	v_fma_f64 v[131:132], v[141:142], s[12:13], v[131:132]
	;; [unrolled: 1-line block ×7, first 2 shown]
	v_add_f64 v[107:108], v[127:128], v[119:120]
	v_add_f64 v[109:110], v[129:130], v[121:122]
	v_add_f64 v[111:112], v[127:128], -v[119:120]
	v_add_f64 v[113:114], v[129:130], -v[121:122]
	v_fma_f64 v[152:153], v[162:163], s[18:19], v[152:153]
	v_fma_f64 v[162:163], v[180:181], s[18:19], v[168:169]
	v_fma_f64 v[168:169], v[186:187], s[16:17], -v[178:179]
	v_fma_f64 v[154:155], v[160:161], s[12:13], v[154:155]
	v_fma_f64 v[158:159], v[158:159], s[0:1], -v[164:165]
	;; [unrolled: 2-line block ×3, first 2 shown]
	v_fma_f64 v[166:167], v[184:185], s[14:15], -v[176:177]
	v_cmp_gt_u16_e64 s0, 0xa0, v196
	v_add_f64 v[115:116], v[135:136], v[152:153]
	v_add_f64 v[152:153], v[135:136], -v[152:153]
	v_add_f64 v[117:118], v[131:132], v[162:163]
	v_add_f64 v[129:130], v[133:134], v[168:169]
	v_add_f64 v[119:120], v[172:173], v[154:155]
	v_add_f64 v[123:124], v[174:175], v[158:159]
	v_add_f64 v[121:122], v[139:140], v[164:165]
	v_add_f64 v[127:128], v[137:138], v[160:161]
	v_add_f64 v[125:126], v[141:142], v[166:167]
	v_add_f64 v[172:173], v[172:173], -v[154:155]
	v_add_f64 v[154:155], v[131:132], -v[162:163]
	;; [unrolled: 1-line block ×7, first 2 shown]
	ds_write_b128 v201, v[107:110]
	ds_write_b128 v201, v[111:114] offset:3200
	ds_write_b128 v201, v[115:118] offset:640
	;; [unrolled: 1-line block ×9, first 2 shown]
	s_waitcnt lgkmcnt(0)
	s_barrier
	buffer_gl0_inv
	ds_read_b128 v[160:163], v193
	ds_read_b128 v[180:183], v193 offset:6400
	ds_read_b128 v[164:167], v193 offset:12800
	;; [unrolled: 1-line block ×5, first 2 shown]
	s_and_saveexec_b32 s1, s0
	s_cbranch_execz .LBB0_9
; %bb.8:
	ds_read_b128 v[172:175], v193 offset:10240
	ds_read_b128 v[156:159], v193 offset:16640
	;; [unrolled: 1-line block ×6, first 2 shown]
.LBB0_9:
	s_or_b32 exec_lo, exec_lo, s1
	v_add_nc_u32_e32 v107, 0xffffff60, v196
	v_mad_u64_u32 v[105:106], null, 0x50, v196, s[2:3]
	s_mov_b32 s5, 0xbfebb67a
	v_cndmask_b32_e64 v104, v107, v104, s0
	v_add_co_u32 v108, s1, 0x18c0, v105
	v_mul_i32_i24_e32 v107, 0x50, v104
	v_add_co_ci_u32_e64 v109, s1, 0, v106, s1
	v_add_co_u32 v110, s1, 0x1800, v105
	v_mul_hi_i32_i24_e32 v104, 0x50, v104
	v_add_co_ci_u32_e64 v111, s1, 0, v106, s1
	v_add_co_u32 v105, s1, s2, v107
	v_add_co_ci_u32_e64 v104, s1, s3, v104, s1
	s_clause 0x1
	global_load_dwordx4 v[124:127], v[108:109], off offset:32
	global_load_dwordx4 v[128:131], v[110:111], off offset:256
	v_add_co_u32 v202, s1, 0x18c0, v105
	v_add_co_ci_u32_e64 v203, s1, 0, v104, s1
	v_add_co_u32 v112, s1, 0x1800, v105
	v_add_co_ci_u32_e64 v113, s1, 0, v104, s1
	s_clause 0x7
	global_load_dwordx4 v[104:107], v[202:203], off offset:32
	global_load_dwordx4 v[120:123], v[112:113], off offset:256
	global_load_dwordx4 v[132:135], v[110:111], off offset:192
	global_load_dwordx4 v[116:119], v[112:113], off offset:192
	global_load_dwordx4 v[140:143], v[108:109], off offset:16
	global_load_dwordx4 v[136:139], v[108:109], off offset:48
	global_load_dwordx4 v[112:115], v[202:203], off offset:16
	global_load_dwordx4 v[108:111], v[202:203], off offset:48
	s_mov_b32 s2, 0xe8584caa
	s_mov_b32 s3, 0x3febb67a
	;; [unrolled: 1-line block ×3, first 2 shown]
	s_waitcnt vmcnt(9) lgkmcnt(2)
	v_mul_f64 v[202:203], v[186:187], v[126:127]
	v_mul_f64 v[204:205], v[184:185], v[126:127]
	s_waitcnt vmcnt(8) lgkmcnt(0)
	v_mul_f64 v[206:207], v[188:189], v[130:131]
	v_mul_f64 v[208:209], v[190:191], v[130:131]
	s_waitcnt vmcnt(7)
	v_mul_f64 v[210:211], v[178:179], v[106:107]
	v_mul_f64 v[212:213], v[176:177], v[106:107]
	s_waitcnt vmcnt(6)
	;; [unrolled: 3-line block ×4, first 2 shown]
	v_mul_f64 v[222:223], v[146:147], v[110:111]
	v_mul_f64 v[224:225], v[144:145], v[110:111]
	v_fma_f64 v[184:185], v[184:185], v[124:125], -v[202:203]
	v_fma_f64 v[186:187], v[186:187], v[124:125], v[204:205]
	v_fma_f64 v[190:191], v[190:191], v[128:129], v[206:207]
	v_fma_f64 v[188:189], v[188:189], v[128:129], -v[208:209]
	v_mul_f64 v[202:203], v[174:175], v[118:119]
	v_mul_f64 v[204:205], v[172:173], v[118:119]
	v_fma_f64 v[176:177], v[176:177], v[104:105], -v[210:211]
	v_fma_f64 v[178:179], v[178:179], v[104:105], v[212:213]
	v_fma_f64 v[148:149], v[148:149], v[120:121], -v[214:215]
	v_fma_f64 v[150:151], v[150:151], v[120:121], v[216:217]
	v_mul_f64 v[206:207], v[166:167], v[142:143]
	v_mul_f64 v[208:209], v[164:165], v[142:143]
	;; [unrolled: 1-line block ×4, first 2 shown]
	v_fma_f64 v[180:181], v[180:181], v[132:133], -v[218:219]
	v_fma_f64 v[182:183], v[182:183], v[132:133], v[220:221]
	v_mul_f64 v[218:219], v[158:159], v[114:115]
	v_mul_f64 v[220:221], v[156:157], v[114:115]
	v_fma_f64 v[144:145], v[144:145], v[108:109], -v[222:223]
	v_fma_f64 v[146:147], v[146:147], v[108:109], v[224:225]
	v_add_f64 v[214:215], v[186:187], v[190:191]
	v_add_f64 v[216:217], v[184:185], v[188:189]
	v_fma_f64 v[172:173], v[172:173], v[116:117], -v[202:203]
	v_fma_f64 v[174:175], v[174:175], v[116:117], v[204:205]
	v_add_f64 v[202:203], v[176:177], v[148:149]
	v_add_f64 v[204:205], v[178:179], v[150:151]
	v_fma_f64 v[164:165], v[164:165], v[140:141], -v[206:207]
	v_fma_f64 v[166:167], v[166:167], v[140:141], v[208:209]
	v_fma_f64 v[168:169], v[168:169], v[136:137], -v[210:211]
	v_fma_f64 v[170:171], v[170:171], v[136:137], v[212:213]
	v_add_f64 v[206:207], v[186:187], -v[190:191]
	v_add_f64 v[208:209], v[184:185], -v[188:189]
	v_fma_f64 v[156:157], v[156:157], v[112:113], -v[218:219]
	v_fma_f64 v[158:159], v[158:159], v[112:113], v[220:221]
	v_fma_f64 v[210:211], v[214:215], -0.5, v[182:183]
	v_fma_f64 v[212:213], v[216:217], -0.5, v[180:181]
	v_add_f64 v[214:215], v[178:179], -v[150:151]
	v_add_f64 v[216:217], v[176:177], -v[148:149]
	v_add_f64 v[180:181], v[180:181], v[184:185]
	v_add_f64 v[182:183], v[182:183], v[186:187]
	v_fma_f64 v[202:203], v[202:203], -0.5, v[172:173]
	v_fma_f64 v[204:205], v[204:205], -0.5, v[174:175]
	v_add_f64 v[220:221], v[160:161], v[164:165]
	v_add_f64 v[172:173], v[172:173], v[176:177]
	;; [unrolled: 1-line block ×4, first 2 shown]
	v_add_f64 v[224:225], v[166:167], -v[170:171]
	v_add_f64 v[166:167], v[162:163], v[166:167]
	v_add_f64 v[186:187], v[152:153], v[156:157]
	v_add_f64 v[174:175], v[174:175], v[178:179]
	v_fma_f64 v[226:227], v[208:209], s[4:5], v[210:211]
	v_fma_f64 v[228:229], v[206:207], s[4:5], v[212:213]
	;; [unrolled: 1-line block ×4, first 2 shown]
	v_add_f64 v[210:211], v[156:157], v[144:145]
	v_add_f64 v[212:213], v[164:165], -v[168:169]
	v_add_f64 v[164:165], v[158:159], v[146:147]
	v_fma_f64 v[230:231], v[214:215], s[4:5], v[202:203]
	v_fma_f64 v[232:233], v[216:217], s[2:3], v[204:205]
	v_fma_f64 v[204:205], v[216:217], s[4:5], v[204:205]
	v_fma_f64 v[184:185], v[214:215], s[2:3], v[202:203]
	v_add_f64 v[202:203], v[154:155], v[158:159]
	v_fma_f64 v[176:177], v[218:219], -0.5, v[160:161]
	v_add_f64 v[158:159], v[158:159], -v[146:147]
	v_fma_f64 v[178:179], v[222:223], -0.5, v[162:163]
	v_add_f64 v[156:157], v[156:157], -v[144:145]
	v_add_f64 v[180:181], v[180:181], v[188:189]
	v_add_f64 v[220:221], v[220:221], v[168:169]
	;; [unrolled: 1-line block ×5, first 2 shown]
	v_mul_f64 v[214:215], v[226:227], s[2:3]
	v_mul_f64 v[216:217], v[228:229], -0.5
	v_mul_f64 v[218:219], v[206:207], s[4:5]
	v_mul_f64 v[222:223], v[208:209], -0.5
	v_fma_f64 v[152:153], v[210:211], -0.5, v[152:153]
	v_add_f64 v[210:211], v[166:167], v[170:171]
	v_fma_f64 v[154:155], v[164:165], -0.5, v[154:155]
	v_mul_f64 v[170:171], v[230:231], -0.5
	v_mul_f64 v[234:235], v[232:233], -0.5
	v_mul_f64 v[236:237], v[204:205], s[2:3]
	v_mul_f64 v[188:189], v[184:185], s[4:5]
	v_add_f64 v[164:165], v[202:203], v[146:147]
	v_add_f64 v[166:167], v[174:175], v[150:151]
	v_fma_f64 v[148:149], v[224:225], s[2:3], v[176:177]
	v_fma_f64 v[150:151], v[224:225], s[4:5], v[176:177]
	;; [unrolled: 1-line block ×4, first 2 shown]
	v_add_f64 v[176:177], v[220:221], v[180:181]
	v_add_f64 v[180:181], v[220:221], -v[180:181]
	v_add_f64 v[144:145], v[160:161], -v[162:163]
	v_fma_f64 v[202:203], v[206:207], 0.5, v[214:215]
	v_fma_f64 v[206:207], v[208:209], s[2:3], v[216:217]
	v_fma_f64 v[208:209], v[226:227], 0.5, v[218:219]
	v_fma_f64 v[214:215], v[228:229], s[4:5], v[222:223]
	v_fma_f64 v[168:169], v[158:159], s[2:3], v[152:153]
	;; [unrolled: 1-line block ×6, first 2 shown]
	v_fma_f64 v[170:171], v[184:185], 0.5, v[236:237]
	v_fma_f64 v[172:173], v[156:157], s[4:5], v[154:155]
	v_fma_f64 v[174:175], v[204:205], 0.5, v[188:189]
	v_add_f64 v[178:179], v[210:211], v[182:183]
	v_add_f64 v[146:147], v[164:165], -v[166:167]
	v_add_f64 v[182:183], v[210:211], -v[182:183]
	v_add_f64 v[184:185], v[148:149], v[202:203]
	v_add_f64 v[188:189], v[150:151], v[206:207]
	v_add_f64 v[202:203], v[148:149], -v[202:203]
	v_add_f64 v[206:207], v[150:151], -v[206:207]
	v_add_f64 v[186:187], v[224:225], v[208:209]
	v_add_f64 v[190:191], v[212:213], v[214:215]
	v_add_f64 v[204:205], v[224:225], -v[208:209]
	v_add_f64 v[148:149], v[158:159], v[218:219]
	v_add_f64 v[150:151], v[216:217], v[222:223]
	v_add_f64 v[152:153], v[168:169], -v[170:171]
	v_add_f64 v[156:157], v[158:159], -v[218:219]
	;; [unrolled: 1-line block ×5, first 2 shown]
	ds_write_b128 v193, v[176:179]
	ds_write_b128 v193, v[184:187] offset:6400
	ds_write_b128 v193, v[188:191] offset:12800
	ds_write_b128 v193, v[180:183] offset:19200
	ds_write_b128 v193, v[202:205] offset:25600
	ds_write_b128 v193, v[206:209] offset:32000
	s_and_saveexec_b32 s1, s0
	s_cbranch_execz .LBB0_11
; %bb.10:
	v_add_f64 v[164:165], v[164:165], v[166:167]
	v_add_f64 v[162:163], v[160:161], v[162:163]
	;; [unrolled: 1-line block ×4, first 2 shown]
	ds_write_b128 v193, v[148:151] offset:16640
	ds_write_b128 v193, v[144:147] offset:23040
	ds_write_b128 v193, v[152:155] offset:29440
	ds_write_b128 v193, v[162:165] offset:3840
	ds_write_b128 v193, v[170:173] offset:10240
	ds_write_b128 v193, v[156:159] offset:35840
.LBB0_11:
	s_or_b32 exec_lo, exec_lo, s1
	v_add_co_u32 v160, s1, 0x9000, v194
	v_add_co_ci_u32_e64 v161, s1, 0, v195, s1
	v_add_co_u32 v164, s1, 0xb800, v194
	v_add_co_ci_u32_e64 v165, s1, 0, v195, s1
	;; [unrolled: 2-line block ×7, first 2 shown]
	v_add_co_u32 v188, s1, 0x11000, v194
	s_waitcnt lgkmcnt(0)
	s_barrier
	buffer_gl0_inv
	s_clause 0x4
	global_load_dwordx4 v[160:163], v[160:161], off offset:1536
	global_load_dwordx4 v[164:167], v[164:165], off offset:896
	;; [unrolled: 1-line block ×5, first 2 shown]
	v_add_co_ci_u32_e64 v189, s1, 0, v195, s1
	s_clause 0x2
	global_load_dwordx4 v[180:183], v[180:181], off offset:640
	global_load_dwordx4 v[184:187], v[184:185], off
	global_load_dwordx4 v[188:191], v[188:189], off offset:1408
	ds_read_b128 v[202:205], v193
	ds_read_b128 v[206:209], v193 offset:9600
	ds_read_b128 v[210:213], v193 offset:19200
	;; [unrolled: 1-line block ×7, first 2 shown]
	s_waitcnt vmcnt(7) lgkmcnt(7)
	v_mul_f64 v[234:235], v[204:205], v[162:163]
	v_mul_f64 v[162:163], v[202:203], v[162:163]
	s_waitcnt vmcnt(6) lgkmcnt(6)
	v_mul_f64 v[236:237], v[208:209], v[166:167]
	v_mul_f64 v[166:167], v[206:207], v[166:167]
	;; [unrolled: 3-line block ×8, first 2 shown]
	v_fma_f64 v[202:203], v[202:203], v[160:161], -v[234:235]
	v_fma_f64 v[204:205], v[204:205], v[160:161], v[162:163]
	v_fma_f64 v[160:161], v[206:207], v[164:165], -v[236:237]
	v_fma_f64 v[162:163], v[208:209], v[164:165], v[166:167]
	;; [unrolled: 2-line block ×8, first 2 shown]
	ds_write_b128 v193, v[202:205]
	ds_write_b128 v193, v[160:163] offset:9600
	ds_write_b128 v193, v[164:167] offset:19200
	;; [unrolled: 1-line block ×7, first 2 shown]
	s_and_saveexec_b32 s2, vcc_lo
	s_cbranch_execz .LBB0_13
; %bb.12:
	v_add_co_u32 v166, s1, 0x9600, v194
	v_add_co_ci_u32_e64 v167, s1, 0, v195, s1
	v_add_co_u32 v160, s1, 0x1800, v166
	v_add_co_ci_u32_e64 v161, s1, 0, v167, s1
	;; [unrolled: 2-line block ×4, first 2 shown]
	v_add_co_u32 v172, s1, 0x8800, v166
	global_load_dwordx4 v[160:163], v[160:161], off offset:1536
	v_add_co_ci_u32_e64 v173, s1, 0, v167, s1
	s_clause 0x2
	global_load_dwordx4 v[164:167], v[164:165], off offset:896
	global_load_dwordx4 v[168:171], v[168:169], off offset:256
	;; [unrolled: 1-line block ×3, first 2 shown]
	ds_read_b128 v[176:179], v193 offset:7680
	ds_read_b128 v[180:183], v193 offset:17280
	;; [unrolled: 1-line block ×4, first 2 shown]
	s_waitcnt vmcnt(3) lgkmcnt(3)
	v_mul_f64 v[202:203], v[178:179], v[162:163]
	v_mul_f64 v[162:163], v[176:177], v[162:163]
	s_waitcnt vmcnt(2) lgkmcnt(2)
	v_mul_f64 v[204:205], v[182:183], v[166:167]
	v_mul_f64 v[166:167], v[180:181], v[166:167]
	;; [unrolled: 3-line block ×4, first 2 shown]
	v_fma_f64 v[174:175], v[176:177], v[160:161], -v[202:203]
	v_fma_f64 v[176:177], v[178:179], v[160:161], v[162:163]
	v_fma_f64 v[160:161], v[180:181], v[164:165], -v[204:205]
	v_fma_f64 v[162:163], v[182:183], v[164:165], v[166:167]
	;; [unrolled: 2-line block ×4, first 2 shown]
	ds_write_b128 v193, v[174:177] offset:7680
	ds_write_b128 v193, v[160:163] offset:17280
	ds_write_b128 v193, v[164:167] offset:26880
	ds_write_b128 v193, v[168:171] offset:36480
.LBB0_13:
	s_or_b32 exec_lo, exec_lo, s2
	s_waitcnt lgkmcnt(0)
	s_barrier
	buffer_gl0_inv
	ds_read_b128 v[160:163], v193
	ds_read_b128 v[164:167], v193 offset:3840
	ds_read_b128 v[172:175], v193 offset:9600
	;; [unrolled: 1-line block ×7, first 2 shown]
	s_and_saveexec_b32 s1, vcc_lo
	s_cbranch_execz .LBB0_15
; %bb.14:
	ds_read_b128 v[144:147], v193 offset:17280
	ds_read_b128 v[152:155], v193 offset:26880
	;; [unrolled: 1-line block ×4, first 2 shown]
.LBB0_15:
	s_or_b32 exec_lo, exec_lo, s1
	s_waitcnt lgkmcnt(3)
	v_add_f64 v[188:189], v[160:161], -v[188:189]
	v_add_f64 v[190:191], v[162:163], -v[190:191]
	s_waitcnt lgkmcnt(1)
	v_add_f64 v[184:185], v[172:173], -v[184:185]
	v_add_f64 v[186:187], v[174:175], -v[186:187]
	;; [unrolled: 1-line block ×4, first 2 shown]
	s_waitcnt lgkmcnt(0)
	v_add_f64 v[176:177], v[168:169], -v[176:177]
	v_add_f64 v[178:179], v[170:171], -v[178:179]
	v_add_f64 v[152:153], v[148:149], -v[152:153]
	v_add_f64 v[154:155], v[150:151], -v[154:155]
	v_add_f64 v[214:215], v[144:145], -v[156:157]
	v_add_f64 v[216:217], v[146:147], -v[158:159]
	s_barrier
	buffer_gl0_inv
	v_fma_f64 v[202:203], v[160:161], 2.0, -v[188:189]
	v_fma_f64 v[204:205], v[162:163], 2.0, -v[190:191]
	;; [unrolled: 1-line block ×12, first 2 shown]
	v_add_f64 v[160:161], v[188:189], v[186:187]
	v_add_f64 v[162:163], v[190:191], -v[184:185]
	v_add_f64 v[164:165], v[180:181], v[178:179]
	v_add_f64 v[166:167], v[182:183], -v[176:177]
	;; [unrolled: 2-line block ×3, first 2 shown]
	v_add_f64 v[168:169], v[202:203], -v[172:173]
	v_add_f64 v[170:171], v[204:205], -v[174:175]
	;; [unrolled: 1-line block ×6, first 2 shown]
	v_fma_f64 v[176:177], v[188:189], 2.0, -v[160:161]
	v_fma_f64 v[178:179], v[190:191], 2.0, -v[162:163]
	;; [unrolled: 1-line block ×8, first 2 shown]
	ds_write_b128 v198, v[160:163] offset:48
	ds_write_b128 v198, v[176:179] offset:16
	;; [unrolled: 1-line block ×5, first 2 shown]
	ds_write_b128 v198, v[184:187]
	ds_write_b128 v199, v[188:191]
	ds_write_b128 v199, v[164:167] offset:48
	s_and_saveexec_b32 s1, vcc_lo
	s_cbranch_execz .LBB0_17
; %bb.16:
	v_fma_f64 v[158:159], v[158:159], 2.0, -v[146:147]
	v_fma_f64 v[156:157], v[156:157], 2.0, -v[144:145]
	;; [unrolled: 1-line block ×4, first 2 shown]
	ds_write_b128 v197, v[144:147] offset:32
	ds_write_b128 v197, v[156:159]
	ds_write_b128 v197, v[152:155] offset:16
	ds_write_b128 v197, v[148:151] offset:48
.LBB0_17:
	s_or_b32 exec_lo, exec_lo, s1
	s_waitcnt lgkmcnt(0)
	s_barrier
	buffer_gl0_inv
	ds_read_b128 v[152:155], v193 offset:11520
	ds_read_b128 v[156:159], v193 offset:19200
	;; [unrolled: 1-line block ×9, first 2 shown]
	ds_read_b128 v[188:191], v193
	s_mov_b32 s12, 0x134454ff
	s_mov_b32 s13, 0xbfee6f0e
	;; [unrolled: 1-line block ×10, first 2 shown]
	s_waitcnt lgkmcnt(9)
	v_mul_f64 v[197:198], v[38:39], v[152:153]
	s_waitcnt lgkmcnt(8)
	v_mul_f64 v[202:203], v[46:47], v[156:157]
	;; [unrolled: 2-line block ×5, first 2 shown]
	v_mul_f64 v[38:39], v[38:39], v[154:155]
	v_mul_f64 v[46:47], v[46:47], v[158:159]
	;; [unrolled: 1-line block ×4, first 2 shown]
	s_waitcnt lgkmcnt(4)
	v_mul_f64 v[210:211], v[66:67], v[174:175]
	v_mul_f64 v[66:67], v[66:67], v[172:173]
	s_waitcnt lgkmcnt(1)
	v_mul_f64 v[216:217], v[54:55], v[184:185]
	v_mul_f64 v[54:55], v[54:55], v[186:187]
	;; [unrolled: 1-line block ×7, first 2 shown]
	s_mov_b32 s21, 0xbfd3c6ef
	s_mov_b32 s20, s2
	;; [unrolled: 1-line block ×4, first 2 shown]
	v_fma_f64 v[154:155], v[36:37], v[154:155], -v[197:198]
	v_fma_f64 v[158:159], v[44:45], v[158:159], -v[202:203]
	v_fma_f64 v[162:163], v[40:41], v[162:163], -v[204:205]
	v_fma_f64 v[166:167], v[48:49], v[166:167], -v[206:207]
	s_waitcnt lgkmcnt(0)
	v_fma_f64 v[36:37], v[36:37], v[152:153], v[38:39]
	v_fma_f64 v[44:45], v[44:45], v[156:157], v[46:47]
	;; [unrolled: 1-line block ×4, first 2 shown]
	v_fma_f64 v[48:49], v[32:33], v[170:171], -v[208:209]
	v_fma_f64 v[172:173], v[64:65], v[172:173], v[210:211]
	v_fma_f64 v[64:65], v[64:65], v[174:175], -v[66:67]
	v_fma_f64 v[66:67], v[52:53], v[186:187], -v[216:217]
	v_fma_f64 v[46:47], v[52:53], v[184:185], v[54:55]
	v_fma_f64 v[38:39], v[60:61], v[176:177], v[212:213]
	v_fma_f64 v[60:61], v[60:61], v[178:179], -v[62:63]
	v_fma_f64 v[62:63], v[56:57], v[180:181], v[214:215]
	v_fma_f64 v[56:57], v[56:57], v[182:183], -v[58:59]
	v_fma_f64 v[32:33], v[32:33], v[168:169], v[34:35]
	s_barrier
	buffer_gl0_inv
	v_add_f64 v[208:209], v[154:155], -v[158:159]
	v_add_f64 v[50:51], v[158:159], v[162:163]
	v_add_f64 v[52:53], v[154:155], v[166:167]
	v_add_f64 v[206:207], v[154:155], -v[166:167]
	v_add_f64 v[210:211], v[166:167], -v[162:163]
	;; [unrolled: 1-line block ×3, first 2 shown]
	v_add_f64 v[164:165], v[44:45], v[40:41]
	v_add_f64 v[168:169], v[36:37], v[42:43]
	v_add_f64 v[170:171], v[36:37], -v[42:43]
	v_add_f64 v[174:175], v[44:45], -v[40:41]
	v_add_f64 v[34:35], v[188:189], v[172:173]
	v_add_f64 v[204:205], v[64:65], v[66:67]
	;; [unrolled: 1-line block ×3, first 2 shown]
	v_add_f64 v[156:157], v[172:173], -v[38:39]
	v_add_f64 v[212:213], v[158:159], -v[154:155]
	v_add_f64 v[54:55], v[38:39], v[62:63]
	v_add_f64 v[160:161], v[46:47], -v[62:63]
	v_add_f64 v[184:185], v[60:61], v[56:57]
	v_add_f64 v[214:215], v[162:163], -v[166:167]
	v_add_f64 v[182:183], v[190:191], v[64:65]
	v_add_f64 v[58:59], v[64:65], -v[66:67]
	v_add_f64 v[152:153], v[60:61], -v[56:57]
	;; [unrolled: 1-line block ×3, first 2 shown]
	v_fma_f64 v[50:51], v[50:51], -0.5, v[48:49]
	v_fma_f64 v[52:53], v[52:53], -0.5, v[48:49]
	v_add_f64 v[48:49], v[48:49], v[154:155]
	v_add_f64 v[180:181], v[62:63], -v[46:47]
	v_add_f64 v[172:173], v[172:173], -v[46:47]
	v_fma_f64 v[164:165], v[164:165], -0.5, v[32:33]
	v_fma_f64 v[168:169], v[168:169], -0.5, v[32:33]
	v_add_f64 v[32:33], v[32:33], v[36:37]
	v_add_f64 v[186:187], v[38:39], -v[62:63]
	v_add_f64 v[224:225], v[36:37], -v[44:45]
	;; [unrolled: 1-line block ×3, first 2 shown]
	v_add_f64 v[34:35], v[34:35], v[38:39]
	v_fma_f64 v[38:39], v[176:177], -0.5, v[188:189]
	v_add_f64 v[176:177], v[208:209], v[210:211]
	v_fma_f64 v[54:55], v[54:55], -0.5, v[188:189]
	;; [unrolled: 2-line block ×3, first 2 shown]
	v_fma_f64 v[160:161], v[204:205], -0.5, v[190:191]
	v_add_f64 v[36:37], v[44:45], -v[36:37]
	v_add_f64 v[228:229], v[40:41], -v[42:43]
	v_add_f64 v[184:185], v[212:213], v[214:215]
	v_add_f64 v[197:198], v[64:65], -v[60:61]
	v_fma_f64 v[220:221], v[170:171], s[4:5], v[50:51]
	v_fma_f64 v[222:223], v[174:175], s[12:13], v[52:53]
	;; [unrolled: 1-line block ×4, first 2 shown]
	v_add_f64 v[64:65], v[60:61], -v[64:65]
	v_fma_f64 v[188:189], v[206:207], s[12:13], v[164:165]
	v_fma_f64 v[190:191], v[216:217], s[4:5], v[168:169]
	;; [unrolled: 1-line block ×4, first 2 shown]
	v_add_f64 v[60:61], v[182:183], v[60:61]
	v_add_f64 v[32:33], v[32:33], v[44:45]
	;; [unrolled: 1-line block ×3, first 2 shown]
	v_add_f64 v[202:203], v[66:67], -v[56:57]
	v_add_f64 v[218:219], v[56:57], -v[66:67]
	v_add_f64 v[44:45], v[224:225], v[226:227]
	v_fma_f64 v[158:159], v[58:59], s[12:13], v[54:55]
	v_fma_f64 v[54:55], v[58:59], s[4:5], v[54:55]
	v_add_f64 v[34:35], v[34:35], v[62:63]
	v_add_f64 v[36:37], v[36:37], v[228:229]
	v_fma_f64 v[204:205], v[174:175], s[16:17], v[220:221]
	v_fma_f64 v[208:209], v[170:171], s[16:17], v[222:223]
	;; [unrolled: 1-line block ×4, first 2 shown]
	v_add_f64 v[170:171], v[178:179], v[180:181]
	v_fma_f64 v[174:175], v[152:153], s[4:5], v[38:39]
	v_fma_f64 v[38:39], v[152:153], s[12:13], v[38:39]
	;; [unrolled: 1-line block ×10, first 2 shown]
	v_add_f64 v[56:57], v[60:61], v[56:57]
	v_add_f64 v[32:33], v[32:33], v[40:41]
	v_add_f64 v[40:41], v[48:49], v[162:163]
	v_add_f64 v[64:65], v[64:65], v[218:219]
	v_fma_f64 v[48:49], v[152:153], s[14:15], v[158:159]
	v_fma_f64 v[54:55], v[152:153], s[16:17], v[54:55]
	v_add_f64 v[46:47], v[34:35], v[46:47]
	v_fma_f64 v[190:191], v[176:177], s[2:3], v[204:205]
	v_fma_f64 v[204:205], v[184:185], s[2:3], v[208:209]
	;; [unrolled: 1-line block ×4, first 2 shown]
	v_add_f64 v[176:177], v[197:198], v[202:203]
	v_fma_f64 v[60:61], v[58:59], s[14:15], v[174:175]
	v_fma_f64 v[38:39], v[58:59], s[16:17], v[38:39]
	;; [unrolled: 1-line block ×10, first 2 shown]
	v_add_f64 v[56:57], v[56:57], v[66:67]
	v_add_f64 v[42:43], v[32:33], v[42:43]
	;; [unrolled: 1-line block ×3, first 2 shown]
	v_fma_f64 v[66:67], v[154:155], s[2:3], v[48:49]
	v_fma_f64 v[154:155], v[154:155], s[2:3], v[54:55]
	v_mul_f64 v[162:163], v[190:191], s[14:15]
	v_mul_f64 v[174:175], v[190:191], s[18:19]
	;; [unrolled: 1-line block ×8, first 2 shown]
	v_fma_f64 v[60:61], v[170:171], s[2:3], v[60:61]
	v_fma_f64 v[166:167], v[170:171], s[2:3], v[38:39]
	;; [unrolled: 1-line block ×6, first 2 shown]
	v_add_f64 v[32:33], v[46:47], v[42:43]
	v_add_f64 v[34:35], v[56:57], v[40:41]
	v_add_f64 v[38:39], v[56:57], -v[40:41]
	v_fma_f64 v[64:65], v[158:159], s[18:19], v[162:163]
	v_fma_f64 v[158:159], v[158:159], s[16:17], v[174:175]
	;; [unrolled: 1-line block ×8, first 2 shown]
	v_add_f64 v[36:37], v[46:47], -v[42:43]
	v_add_f64 v[40:41], v[66:67], v[64:65]
	v_add_f64 v[42:43], v[58:59], v[158:159]
	;; [unrolled: 1-line block ×8, first 2 shown]
	v_add_f64 v[56:57], v[66:67], -v[64:65]
	v_add_f64 v[58:59], v[58:59], -v[158:159]
	;; [unrolled: 1-line block ×8, first 2 shown]
	ds_write_b128 v200, v[32:35]
	ds_write_b128 v200, v[36:39] offset:320
	ds_write_b128 v200, v[40:43] offset:64
	;; [unrolled: 1-line block ×9, first 2 shown]
	s_waitcnt lgkmcnt(0)
	s_barrier
	buffer_gl0_inv
	ds_read_b128 v[32:35], v193 offset:11520
	ds_read_b128 v[36:39], v193 offset:19200
	;; [unrolled: 1-line block ×9, first 2 shown]
	s_waitcnt lgkmcnt(8)
	v_mul_f64 v[152:153], v[82:83], v[32:33]
	s_waitcnt lgkmcnt(7)
	v_mul_f64 v[154:155], v[74:75], v[36:37]
	;; [unrolled: 2-line block ×5, first 2 shown]
	v_mul_f64 v[82:83], v[82:83], v[34:35]
	v_mul_f64 v[74:75], v[74:75], v[38:39]
	;; [unrolled: 1-line block ×4, first 2 shown]
	s_waitcnt lgkmcnt(3)
	v_mul_f64 v[162:163], v[102:103], v[54:55]
	v_mul_f64 v[102:103], v[102:103], v[52:53]
	s_waitcnt lgkmcnt(2)
	v_mul_f64 v[164:165], v[98:99], v[58:59]
	v_mul_f64 v[98:99], v[98:99], v[56:57]
	s_waitcnt lgkmcnt(1)
	v_mul_f64 v[166:167], v[94:95], v[62:63]
	s_waitcnt lgkmcnt(0)
	v_mul_f64 v[168:169], v[90:91], v[64:65]
	v_mul_f64 v[94:95], v[94:95], v[60:61]
	;; [unrolled: 1-line block ×4, first 2 shown]
	v_fma_f64 v[34:35], v[80:81], v[34:35], -v[152:153]
	v_fma_f64 v[38:39], v[72:73], v[38:39], -v[154:155]
	;; [unrolled: 1-line block ×5, first 2 shown]
	v_fma_f64 v[32:33], v[80:81], v[32:33], v[82:83]
	v_fma_f64 v[36:37], v[72:73], v[36:37], v[74:75]
	;; [unrolled: 1-line block ×5, first 2 shown]
	v_fma_f64 v[54:55], v[100:101], v[54:55], -v[102:103]
	v_fma_f64 v[56:57], v[96:97], v[56:57], v[164:165]
	v_fma_f64 v[58:59], v[96:97], v[58:59], -v[98:99]
	v_fma_f64 v[60:61], v[92:93], v[60:61], v[166:167]
	v_fma_f64 v[66:67], v[88:89], v[66:67], -v[168:169]
	v_fma_f64 v[62:63], v[92:93], v[62:63], -v[94:95]
	v_fma_f64 v[64:65], v[88:89], v[64:65], v[90:91]
	v_fma_f64 v[48:49], v[68:69], v[48:49], v[70:71]
	ds_read_b128 v[152:155], v193
	s_waitcnt lgkmcnt(0)
	s_barrier
	buffer_gl0_inv
	v_add_f64 v[164:165], v[34:35], -v[38:39]
	v_add_f64 v[72:73], v[38:39], v[42:43]
	v_add_f64 v[74:75], v[34:35], v[46:47]
	v_add_f64 v[162:163], v[34:35], -v[46:47]
	v_add_f64 v[166:167], v[46:47], -v[42:43]
	;; [unrolled: 1-line block ×3, first 2 shown]
	v_add_f64 v[84:85], v[36:37], v[40:41]
	v_add_f64 v[86:87], v[32:33], v[44:45]
	v_add_f64 v[88:89], v[32:33], -v[44:45]
	v_add_f64 v[90:91], v[36:37], -v[40:41]
	;; [unrolled: 1-line block ×4, first 2 shown]
	v_add_f64 v[70:71], v[56:57], v[60:61]
	v_add_f64 v[160:161], v[54:55], v[66:67]
	;; [unrolled: 1-line block ×4, first 2 shown]
	v_add_f64 v[82:83], v[64:65], -v[60:61]
	v_add_f64 v[92:93], v[52:53], v[64:65]
	v_add_f64 v[170:171], v[42:43], -v[46:47]
	v_add_f64 v[98:99], v[154:155], v[54:55]
	v_add_f64 v[34:35], v[50:51], v[34:35]
	v_add_f64 v[76:77], v[54:55], -v[66:67]
	v_add_f64 v[78:79], v[58:59], -v[62:63]
	v_fma_f64 v[72:73], v[72:73], -0.5, v[50:51]
	v_fma_f64 v[74:75], v[74:75], -0.5, v[50:51]
	v_add_f64 v[94:95], v[56:57], -v[52:53]
	v_add_f64 v[96:97], v[60:61], -v[64:65]
	;; [unrolled: 1-line block ×3, first 2 shown]
	v_fma_f64 v[84:85], v[84:85], -0.5, v[48:49]
	v_fma_f64 v[86:87], v[86:87], -0.5, v[48:49]
	v_add_f64 v[48:49], v[48:49], v[32:33]
	v_add_f64 v[102:103], v[56:57], -v[60:61]
	v_add_f64 v[180:181], v[32:33], -v[36:37]
	;; [unrolled: 1-line block ×3, first 2 shown]
	v_fma_f64 v[50:51], v[70:71], -0.5, v[152:153]
	v_add_f64 v[32:33], v[36:37], -v[32:33]
	v_add_f64 v[184:185], v[40:41], -v[44:45]
	v_add_f64 v[56:57], v[68:69], v[56:57]
	v_add_f64 v[70:71], v[80:81], v[82:83]
	v_fma_f64 v[68:69], v[92:93], -0.5, v[152:153]
	v_fma_f64 v[80:81], v[100:101], -0.5, v[154:155]
	;; [unrolled: 1-line block ×3, first 2 shown]
	v_add_f64 v[92:93], v[164:165], v[166:167]
	v_add_f64 v[100:101], v[168:169], v[170:171]
	v_add_f64 v[156:157], v[54:55], -v[58:59]
	v_fma_f64 v[176:177], v[88:89], s[4:5], v[72:73]
	v_fma_f64 v[178:179], v[90:91], s[12:13], v[74:75]
	;; [unrolled: 1-line block ×4, first 2 shown]
	v_add_f64 v[54:55], v[58:59], -v[54:55]
	v_fma_f64 v[152:153], v[162:163], s[12:13], v[84:85]
	v_fma_f64 v[154:155], v[172:173], s[4:5], v[86:87]
	;; [unrolled: 1-line block ×4, first 2 shown]
	v_add_f64 v[58:59], v[98:99], v[58:59]
	v_add_f64 v[36:37], v[48:49], v[36:37]
	;; [unrolled: 1-line block ×3, first 2 shown]
	v_add_f64 v[158:159], v[66:67], -v[62:63]
	v_add_f64 v[48:49], v[180:181], v[182:183]
	v_fma_f64 v[38:39], v[76:77], s[12:13], v[50:51]
	v_fma_f64 v[50:51], v[76:77], s[4:5], v[50:51]
	v_add_f64 v[174:175], v[62:63], -v[66:67]
	v_add_f64 v[32:33], v[32:33], v[184:185]
	v_add_f64 v[56:57], v[56:57], v[60:61]
	v_fma_f64 v[160:161], v[90:91], s[16:17], v[176:177]
	v_fma_f64 v[164:165], v[88:89], s[16:17], v[178:179]
	;; [unrolled: 1-line block ×4, first 2 shown]
	v_add_f64 v[88:89], v[94:95], v[96:97]
	v_fma_f64 v[90:91], v[78:79], s[4:5], v[68:69]
	v_fma_f64 v[68:69], v[78:79], s[12:13], v[68:69]
	;; [unrolled: 1-line block ×10, first 2 shown]
	v_add_f64 v[58:59], v[58:59], v[62:63]
	v_add_f64 v[36:37], v[36:37], v[40:41]
	;; [unrolled: 1-line block ×3, first 2 shown]
	v_fma_f64 v[38:39], v[78:79], s[14:15], v[38:39]
	v_fma_f64 v[40:41], v[78:79], s[16:17], v[50:51]
	v_add_f64 v[54:55], v[54:55], v[174:175]
	v_add_f64 v[56:57], v[56:57], v[64:65]
	v_fma_f64 v[154:155], v[92:93], s[2:3], v[160:161]
	v_fma_f64 v[160:161], v[100:101], s[2:3], v[164:165]
	;; [unrolled: 1-line block ×4, first 2 shown]
	v_add_f64 v[92:93], v[156:157], v[158:159]
	v_fma_f64 v[42:43], v[76:77], s[14:15], v[90:91]
	v_fma_f64 v[50:51], v[76:77], s[16:17], v[68:69]
	;; [unrolled: 1-line block ×10, first 2 shown]
	v_add_f64 v[58:59], v[58:59], v[66:67]
	v_add_f64 v[36:37], v[36:37], v[44:45]
	;; [unrolled: 1-line block ×3, first 2 shown]
	v_fma_f64 v[38:39], v[70:71], s[2:3], v[38:39]
	v_fma_f64 v[44:45], v[70:71], s[2:3], v[40:41]
	v_mul_f64 v[80:81], v[154:155], s[14:15]
	v_mul_f64 v[90:91], v[154:155], s[18:19]
	;; [unrolled: 1-line block ×8, first 2 shown]
	v_fma_f64 v[46:47], v[92:93], s[2:3], v[60:61]
	v_fma_f64 v[40:41], v[88:89], s[2:3], v[42:43]
	;; [unrolled: 1-line block ×6, first 2 shown]
	v_add_f64 v[52:53], v[56:57], -v[36:37]
	v_add_f64 v[50:51], v[58:59], v[34:35]
	v_add_f64 v[54:55], v[58:59], -v[34:35]
	v_fma_f64 v[80:81], v[76:77], s[18:19], v[80:81]
	v_fma_f64 v[76:77], v[76:77], s[16:17], v[90:91]
	;; [unrolled: 1-line block ×8, first 2 shown]
	v_add_f64 v[48:49], v[56:57], v[36:37]
	v_add_f64 v[56:57], v[38:39], v[80:81]
	;; [unrolled: 1-line block ×9, first 2 shown]
	v_add_f64 v[32:33], v[38:39], -v[80:81]
	v_add_f64 v[34:35], v[46:47], -v[76:77]
	;; [unrolled: 1-line block ×8, first 2 shown]
	ds_write_b128 v201, v[48:51]
	ds_write_b128 v201, v[52:55] offset:3200
	ds_write_b128 v201, v[56:59] offset:640
	;; [unrolled: 1-line block ×9, first 2 shown]
	s_waitcnt lgkmcnt(0)
	s_barrier
	buffer_gl0_inv
	ds_read_b128 v[48:51], v193
	ds_read_b128 v[52:55], v193 offset:6400
	ds_read_b128 v[56:59], v193 offset:12800
	;; [unrolled: 1-line block ×5, first 2 shown]
	s_and_saveexec_b32 s1, s0
	s_cbranch_execz .LBB0_19
; %bb.18:
	ds_read_b128 v[36:39], v193 offset:10240
	ds_read_b128 v[40:43], v193 offset:16640
	;; [unrolled: 1-line block ×6, first 2 shown]
.LBB0_19:
	s_or_b32 exec_lo, exec_lo, s1
	s_waitcnt lgkmcnt(2)
	v_mul_f64 v[72:73], v[126:127], v[64:65]
	s_waitcnt lgkmcnt(0)
	v_mul_f64 v[74:75], v[130:131], v[68:69]
	v_mul_f64 v[76:77], v[134:135], v[52:53]
	;; [unrolled: 1-line block ×7, first 2 shown]
	s_mov_b32 s2, 0xe8584caa
	s_mov_b32 s3, 0xbfebb67a
	s_mov_b32 s5, 0x3febb67a
	s_mov_b32 s4, s2
	v_fma_f64 v[66:67], v[124:125], v[66:67], -v[72:73]
	v_fma_f64 v[70:71], v[128:129], v[70:71], -v[74:75]
	v_mul_f64 v[72:73], v[134:135], v[54:55]
	v_mul_f64 v[74:75], v[142:143], v[58:59]
	v_fma_f64 v[64:65], v[124:125], v[64:65], v[78:79]
	v_fma_f64 v[68:69], v[128:129], v[68:69], v[80:81]
	v_fma_f64 v[54:55], v[132:133], v[54:55], -v[76:77]
	v_fma_f64 v[58:59], v[140:141], v[58:59], -v[82:83]
	v_fma_f64 v[60:61], v[136:137], v[60:61], v[84:85]
	v_fma_f64 v[62:63], v[136:137], v[62:63], -v[86:87]
	v_add_f64 v[76:77], v[66:67], v[70:71]
	v_fma_f64 v[52:53], v[132:133], v[52:53], v[72:73]
	v_fma_f64 v[56:57], v[140:141], v[56:57], v[74:75]
	v_add_f64 v[82:83], v[66:67], -v[70:71]
	v_add_f64 v[72:73], v[64:65], v[68:69]
	v_add_f64 v[74:75], v[64:65], -v[68:69]
	v_add_f64 v[80:81], v[58:59], v[62:63]
	;; [unrolled: 2-line block ×3, first 2 shown]
	v_fma_f64 v[76:77], v[76:77], -0.5, v[54:55]
	v_add_f64 v[54:55], v[54:55], v[66:67]
	v_add_f64 v[78:79], v[56:57], v[60:61]
	v_fma_f64 v[72:73], v[72:73], -0.5, v[52:53]
	v_add_f64 v[52:53], v[52:53], v[64:65]
	v_fma_f64 v[50:51], v[80:81], -0.5, v[50:51]
	v_add_f64 v[58:59], v[58:59], v[62:63]
	v_fma_f64 v[84:85], v[74:75], s[4:5], v[76:77]
	v_fma_f64 v[74:75], v[74:75], s[2:3], v[76:77]
	v_add_f64 v[76:77], v[48:49], v[56:57]
	v_add_f64 v[56:57], v[56:57], -v[60:61]
	v_fma_f64 v[48:49], v[78:79], -0.5, v[48:49]
	v_fma_f64 v[64:65], v[82:83], s[2:3], v[72:73]
	v_fma_f64 v[66:67], v[82:83], s[4:5], v[72:73]
	v_add_f64 v[52:53], v[52:53], v[68:69]
	v_add_f64 v[54:55], v[54:55], v[70:71]
	v_mul_f64 v[72:73], v[84:85], s[2:3]
	v_mul_f64 v[80:81], v[84:85], 0.5
	v_mul_f64 v[78:79], v[74:75], s[2:3]
	v_mul_f64 v[74:75], v[74:75], -0.5
	v_add_f64 v[60:61], v[76:77], v[60:61]
	v_fma_f64 v[68:69], v[86:87], s[2:3], v[48:49]
	v_fma_f64 v[76:77], v[56:57], s[4:5], v[50:51]
	;; [unrolled: 1-line block ×4, first 2 shown]
	v_add_f64 v[50:51], v[58:59], v[54:55]
	v_add_f64 v[54:55], v[58:59], -v[54:55]
	v_fma_f64 v[72:73], v[64:65], 0.5, v[72:73]
	v_fma_f64 v[80:81], v[64:65], s[4:5], v[80:81]
	v_fma_f64 v[78:79], v[66:67], -0.5, v[78:79]
	v_fma_f64 v[74:75], v[66:67], s[4:5], v[74:75]
	v_add_f64 v[48:49], v[60:61], v[52:53]
	v_add_f64 v[52:53], v[60:61], -v[52:53]
	v_add_f64 v[56:57], v[68:69], v[72:73]
	v_add_f64 v[58:59], v[76:77], v[80:81]
	;; [unrolled: 1-line block ×4, first 2 shown]
	v_add_f64 v[64:65], v[68:69], -v[72:73]
	v_add_f64 v[66:67], v[76:77], -v[80:81]
	v_add_f64 v[68:69], v[70:71], -v[78:79]
	v_add_f64 v[70:71], v[82:83], -v[74:75]
	ds_write_b128 v193, v[48:51]
	ds_write_b128 v193, v[52:55] offset:19200
	ds_write_b128 v193, v[56:59] offset:6400
	;; [unrolled: 1-line block ×5, first 2 shown]
	s_and_saveexec_b32 s1, s0
	s_cbranch_execz .LBB0_21
; %bb.20:
	v_mul_f64 v[48:49], v[106:107], v[44:45]
	v_mul_f64 v[50:51], v[122:123], v[148:149]
	;; [unrolled: 1-line block ×8, first 2 shown]
	v_fma_f64 v[46:47], v[104:105], v[46:47], -v[48:49]
	v_fma_f64 v[48:49], v[120:121], v[150:151], -v[50:51]
	v_mul_f64 v[50:51], v[114:115], v[40:41]
	v_fma_f64 v[44:45], v[104:105], v[44:45], v[52:53]
	v_fma_f64 v[52:53], v[120:121], v[148:149], v[54:55]
	v_fma_f64 v[38:39], v[116:117], v[38:39], -v[56:57]
	v_mul_f64 v[56:57], v[114:115], v[42:43]
	v_fma_f64 v[36:37], v[116:117], v[36:37], v[60:61]
	v_add_f64 v[54:55], v[48:49], v[46:47]
	v_fma_f64 v[42:43], v[112:113], v[42:43], -v[50:51]
	v_fma_f64 v[50:51], v[108:109], v[146:147], -v[58:59]
	v_add_f64 v[58:59], v[52:53], v[44:45]
	v_add_f64 v[60:61], v[44:45], -v[52:53]
	v_fma_f64 v[40:41], v[112:113], v[40:41], v[56:57]
	v_fma_f64 v[56:57], v[108:109], v[144:145], v[62:63]
	v_add_f64 v[64:65], v[46:47], -v[48:49]
	v_fma_f64 v[54:55], v[54:55], -0.5, v[38:39]
	v_add_f64 v[70:71], v[42:43], v[34:35]
	v_add_f64 v[62:63], v[42:43], v[50:51]
	v_fma_f64 v[58:59], v[58:59], -0.5, v[36:37]
	v_add_f64 v[38:39], v[38:39], v[46:47]
	v_add_f64 v[36:37], v[36:37], v[44:45]
	v_add_f64 v[68:69], v[40:41], -v[56:57]
	v_add_f64 v[42:43], v[42:43], -v[50:51]
	v_fma_f64 v[66:67], v[60:61], s[2:3], v[54:55]
	v_fma_f64 v[54:55], v[60:61], s[4:5], v[54:55]
	v_add_f64 v[60:61], v[40:41], v[56:57]
	v_add_f64 v[40:41], v[40:41], v[32:33]
	v_fma_f64 v[34:35], v[62:63], -0.5, v[34:35]
	v_fma_f64 v[44:45], v[64:65], s[4:5], v[58:59]
	v_fma_f64 v[46:47], v[64:65], s[2:3], v[58:59]
	v_add_f64 v[50:51], v[50:51], v[70:71]
	v_add_f64 v[38:39], v[48:49], v[38:39]
	;; [unrolled: 1-line block ×3, first 2 shown]
	v_mul_f64 v[58:59], v[66:67], -0.5
	v_mul_f64 v[62:63], v[54:55], 0.5
	v_fma_f64 v[32:33], v[60:61], -0.5, v[32:33]
	v_mul_f64 v[54:55], v[54:55], s[2:3]
	v_mul_f64 v[60:61], v[66:67], s[2:3]
	v_add_f64 v[40:41], v[56:57], v[40:41]
	v_fma_f64 v[52:53], v[68:69], s[4:5], v[34:35]
	v_fma_f64 v[48:49], v[68:69], s[2:3], v[34:35]
	v_add_f64 v[34:35], v[50:51], -v[38:39]
	v_add_f64 v[38:39], v[50:51], v[38:39]
	v_fma_f64 v[56:57], v[44:45], s[4:5], v[58:59]
	v_fma_f64 v[58:59], v[46:47], s[4:5], v[62:63]
	;; [unrolled: 1-line block ×3, first 2 shown]
	v_fma_f64 v[66:67], v[46:47], 0.5, v[54:55]
	v_fma_f64 v[62:63], v[42:43], s[4:5], v[32:33]
	v_fma_f64 v[60:61], v[44:45], -0.5, v[60:61]
	v_add_f64 v[32:33], v[40:41], -v[36:37]
	v_add_f64 v[36:37], v[40:41], v[36:37]
	v_add_f64 v[42:43], v[48:49], -v[56:57]
	v_add_f64 v[46:47], v[52:53], -v[58:59]
	v_add_f64 v[54:55], v[52:53], v[58:59]
	v_add_f64 v[52:53], v[64:65], v[66:67]
	v_add_f64 v[50:51], v[48:49], v[56:57]
	v_add_f64 v[48:49], v[62:63], v[60:61]
	v_add_f64 v[44:45], v[64:65], -v[66:67]
	v_add_f64 v[40:41], v[62:63], -v[60:61]
	ds_write_b128 v193, v[36:39] offset:3840
	ds_write_b128 v193, v[32:35] offset:23040
	;; [unrolled: 1-line block ×6, first 2 shown]
.LBB0_21:
	s_or_b32 exec_lo, exec_lo, s1
	s_waitcnt lgkmcnt(0)
	s_barrier
	buffer_gl0_inv
	ds_read_b128 v[32:35], v193
	ds_read_b128 v[36:39], v193 offset:9600
	ds_read_b128 v[40:43], v193 offset:19200
	;; [unrolled: 1-line block ×7, first 2 shown]
	v_mad_u64_u32 v[64:65], null, s10, v192, 0
	v_mad_u64_u32 v[66:67], null, s8, v196, 0
	s_mul_i32 s0, s9, 0x258
	s_mul_hi_u32 s1, s8, 0x258
	s_mov_b32 s2, 0xb4e81b4f
	s_add_i32 s5, s1, s0
	s_mul_i32 s4, s8, 0x258
	s_mov_b32 s3, 0x3f3b4e81
	v_mad_u64_u32 v[74:75], null, s11, v192, v[65:66]
	s_waitcnt lgkmcnt(7)
	v_mul_f64 v[68:69], v[2:3], v[34:35]
	s_waitcnt lgkmcnt(6)
	v_mul_f64 v[70:71], v[22:23], v[38:39]
	v_mul_f64 v[22:23], v[22:23], v[36:37]
	s_waitcnt lgkmcnt(5)
	v_mul_f64 v[72:73], v[18:19], v[42:43]
	v_mul_f64 v[2:3], v[2:3], v[32:33]
	;; [unrolled: 1-line block ×3, first 2 shown]
	s_waitcnt lgkmcnt(1)
	v_mul_f64 v[78:79], v[10:11], v[50:51]
	v_mul_f64 v[80:81], v[10:11], v[48:49]
	s_waitcnt lgkmcnt(0)
	v_mul_f64 v[82:83], v[6:7], v[54:55]
	v_mul_f64 v[6:7], v[6:7], v[52:53]
	v_mov_b32_e32 v65, v74
	s_lshl_b64 s[4:5], s[4:5], 4
	s_mul_i32 s1, s9, 0xfffff9e8
	v_mad_u64_u32 v[75:76], null, s9, v196, v[67:68]
	v_mul_f64 v[76:77], v[14:15], v[46:47]
	v_mul_f64 v[14:15], v[14:15], v[44:45]
	v_fma_f64 v[10:11], v[0:1], v[32:33], v[68:69]
	v_fma_f64 v[32:33], v[20:21], v[36:37], v[70:71]
	v_fma_f64 v[20:21], v[20:21], v[38:39], -v[22:23]
	v_fma_f64 v[38:39], v[16:17], v[40:41], v[72:73]
	v_mul_f64 v[22:23], v[26:27], v[58:59]
	v_mul_f64 v[26:27], v[26:27], v[56:57]
	v_fma_f64 v[2:3], v[0:1], v[34:35], -v[2:3]
	v_mul_f64 v[34:35], v[30:31], v[62:63]
	v_fma_f64 v[16:17], v[16:17], v[42:43], -v[18:19]
	v_mul_f64 v[18:19], v[30:31], v[60:61]
	v_mov_b32_e32 v67, v75
	v_lshlrev_b64 v[0:1], 4, v[64:65]
	v_fma_f64 v[42:43], v[4:5], v[54:55], -v[6:7]
	v_lshlrev_b64 v[36:37], 4, v[66:67]
	v_add_co_u32 v0, s0, s6, v0
	v_add_co_ci_u32_e64 v1, s0, s7, v1, s0
	v_fma_f64 v[30:31], v[12:13], v[44:45], v[76:77]
	v_add_co_u32 v36, s0, v0, v36
	v_add_co_ci_u32_e64 v37, s0, v1, v37, s0
	v_mul_f64 v[0:1], v[10:11], s[2:3]
	v_mul_f64 v[10:11], v[32:33], s[2:3]
	v_fma_f64 v[32:33], v[12:13], v[46:47], -v[14:15]
	v_mul_f64 v[12:13], v[20:21], s[2:3]
	v_fma_f64 v[20:21], v[8:9], v[48:49], v[78:79]
	v_fma_f64 v[8:9], v[8:9], v[50:51], -v[80:81]
	v_add_co_u32 v40, s0, v36, s4
	v_mul_f64 v[14:15], v[38:39], s[2:3]
	v_fma_f64 v[38:39], v[4:5], v[52:53], v[82:83]
	v_add_co_ci_u32_e64 v41, s0, s5, v37, s0
	v_fma_f64 v[44:45], v[24:25], v[56:57], v[22:23]
	v_fma_f64 v[46:47], v[24:25], v[58:59], -v[26:27]
	v_fma_f64 v[34:35], v[28:29], v[60:61], v[34:35]
	v_fma_f64 v[48:49], v[28:29], v[62:63], -v[18:19]
	v_mul_f64 v[2:3], v[2:3], s[2:3]
	v_add_co_u32 v50, s0, v40, s4
	v_add_co_ci_u32_e64 v51, s0, s5, v41, s0
	v_mul_f64 v[16:17], v[16:17], s[2:3]
	v_add_co_u32 v52, s0, v50, s4
	v_add_co_ci_u32_e64 v53, s0, s5, v51, s0
	s_mul_hi_u32 s0, s8, 0xfffff9e8
	v_mul_f64 v[4:5], v[30:31], s[2:3]
	s_sub_i32 s0, s0, s8
	v_mul_f64 v[6:7], v[32:33], s[2:3]
	s_add_i32 s1, s0, s1
	s_mul_i32 s0, s8, 0xfffff9e8
	v_mul_f64 v[18:19], v[20:21], s[2:3]
	s_lshl_b64 s[6:7], s[0:1], 4
	v_mul_f64 v[20:21], v[8:9], s[2:3]
	v_add_co_u32 v8, s0, v52, s6
	v_mul_f64 v[22:23], v[38:39], s[2:3]
	v_mul_f64 v[24:25], v[42:43], s[2:3]
	v_add_co_ci_u32_e64 v9, s0, s7, v53, s0
	v_mul_f64 v[26:27], v[44:45], s[2:3]
	v_mul_f64 v[28:29], v[46:47], s[2:3]
	;; [unrolled: 1-line block ×4, first 2 shown]
	global_store_dwordx4 v[36:37], v[0:3], off
	v_add_co_u32 v2, s0, v8, s4
	v_add_co_ci_u32_e64 v3, s0, s5, v9, s0
	global_store_dwordx4 v[40:41], v[10:13], off
	v_add_co_u32 v10, s0, v2, s4
	v_add_co_ci_u32_e64 v11, s0, s5, v3, s0
	;; [unrolled: 3-line block ×3, first 2 shown]
	global_store_dwordx4 v[52:53], v[4:7], off
	global_store_dwordx4 v[8:9], v[18:21], off
	;; [unrolled: 1-line block ×5, first 2 shown]
	s_and_b32 exec_lo, exec_lo, vcc_lo
	s_cbranch_execz .LBB0_23
; %bb.22:
	v_add_co_u32 v2, vcc_lo, 0x1800, v194
	v_add_co_ci_u32_e32 v3, vcc_lo, 0, v195, vcc_lo
	v_add_co_u32 v6, vcc_lo, 0x4000, v194
	v_add_co_ci_u32_e32 v7, vcc_lo, 0, v195, vcc_lo
	;; [unrolled: 2-line block ×3, first 2 shown]
	v_add_co_u32 v14, vcc_lo, 0x8800, v194
	global_load_dwordx4 v[2:5], v[2:3], off offset:1536
	v_add_co_ci_u32_e32 v15, vcc_lo, 0, v195, vcc_lo
	s_clause 0x2
	global_load_dwordx4 v[6:9], v[6:7], off offset:896
	global_load_dwordx4 v[10:13], v[10:11], off offset:256
	;; [unrolled: 1-line block ×3, first 2 shown]
	ds_read_b128 v[18:21], v193 offset:7680
	ds_read_b128 v[22:25], v193 offset:17280
	;; [unrolled: 1-line block ×4, first 2 shown]
	v_add_co_u32 v0, vcc_lo, v0, s6
	v_add_co_ci_u32_e32 v1, vcc_lo, s7, v1, vcc_lo
	s_waitcnt vmcnt(3) lgkmcnt(3)
	v_mul_f64 v[34:35], v[20:21], v[4:5]
	v_mul_f64 v[4:5], v[18:19], v[4:5]
	s_waitcnt vmcnt(2) lgkmcnt(2)
	v_mul_f64 v[36:37], v[24:25], v[8:9]
	v_mul_f64 v[8:9], v[22:23], v[8:9]
	s_waitcnt vmcnt(1) lgkmcnt(1)
	v_mul_f64 v[38:39], v[28:29], v[12:13]
	v_mul_f64 v[12:13], v[26:27], v[12:13]
	s_waitcnt vmcnt(0) lgkmcnt(0)
	v_mul_f64 v[40:41], v[32:33], v[16:17]
	v_mul_f64 v[16:17], v[30:31], v[16:17]
	v_fma_f64 v[18:19], v[18:19], v[2:3], v[34:35]
	v_fma_f64 v[4:5], v[2:3], v[20:21], -v[4:5]
	v_fma_f64 v[20:21], v[22:23], v[6:7], v[36:37]
	v_fma_f64 v[8:9], v[6:7], v[24:25], -v[8:9]
	;; [unrolled: 2-line block ×4, first 2 shown]
	v_mul_f64 v[2:3], v[18:19], s[2:3]
	v_mul_f64 v[4:5], v[4:5], s[2:3]
	;; [unrolled: 1-line block ×8, first 2 shown]
	v_add_co_u32 v18, vcc_lo, v0, s4
	v_add_co_ci_u32_e32 v19, vcc_lo, s5, v1, vcc_lo
	v_add_co_u32 v20, vcc_lo, v18, s4
	v_add_co_ci_u32_e32 v21, vcc_lo, s5, v19, vcc_lo
	;; [unrolled: 2-line block ×3, first 2 shown]
	global_store_dwordx4 v[0:1], v[2:5], off
	global_store_dwordx4 v[18:19], v[6:9], off
	;; [unrolled: 1-line block ×4, first 2 shown]
.LBB0_23:
	s_endpgm
	.section	.rodata,"a",@progbits
	.p2align	6, 0x0
	.amdhsa_kernel bluestein_single_back_len2400_dim1_dp_op_CI_CI
		.amdhsa_group_segment_fixed_size 38400
		.amdhsa_private_segment_fixed_size 0
		.amdhsa_kernarg_size 104
		.amdhsa_user_sgpr_count 6
		.amdhsa_user_sgpr_private_segment_buffer 1
		.amdhsa_user_sgpr_dispatch_ptr 0
		.amdhsa_user_sgpr_queue_ptr 0
		.amdhsa_user_sgpr_kernarg_segment_ptr 1
		.amdhsa_user_sgpr_dispatch_id 0
		.amdhsa_user_sgpr_flat_scratch_init 0
		.amdhsa_user_sgpr_private_segment_size 0
		.amdhsa_wavefront_size32 1
		.amdhsa_uses_dynamic_stack 0
		.amdhsa_system_sgpr_private_segment_wavefront_offset 0
		.amdhsa_system_sgpr_workgroup_id_x 1
		.amdhsa_system_sgpr_workgroup_id_y 0
		.amdhsa_system_sgpr_workgroup_id_z 0
		.amdhsa_system_sgpr_workgroup_info 0
		.amdhsa_system_vgpr_workitem_id 0
		.amdhsa_next_free_vgpr 250
		.amdhsa_next_free_sgpr 24
		.amdhsa_reserve_vcc 1
		.amdhsa_reserve_flat_scratch 0
		.amdhsa_float_round_mode_32 0
		.amdhsa_float_round_mode_16_64 0
		.amdhsa_float_denorm_mode_32 3
		.amdhsa_float_denorm_mode_16_64 3
		.amdhsa_dx10_clamp 1
		.amdhsa_ieee_mode 1
		.amdhsa_fp16_overflow 0
		.amdhsa_workgroup_processor_mode 1
		.amdhsa_memory_ordered 1
		.amdhsa_forward_progress 0
		.amdhsa_shared_vgpr_count 0
		.amdhsa_exception_fp_ieee_invalid_op 0
		.amdhsa_exception_fp_denorm_src 0
		.amdhsa_exception_fp_ieee_div_zero 0
		.amdhsa_exception_fp_ieee_overflow 0
		.amdhsa_exception_fp_ieee_underflow 0
		.amdhsa_exception_fp_ieee_inexact 0
		.amdhsa_exception_int_div_zero 0
	.end_amdhsa_kernel
	.text
.Lfunc_end0:
	.size	bluestein_single_back_len2400_dim1_dp_op_CI_CI, .Lfunc_end0-bluestein_single_back_len2400_dim1_dp_op_CI_CI
                                        ; -- End function
	.section	.AMDGPU.csdata,"",@progbits
; Kernel info:
; codeLenInByte = 15172
; NumSgprs: 26
; NumVgprs: 250
; ScratchSize: 0
; MemoryBound: 0
; FloatMode: 240
; IeeeMode: 1
; LDSByteSize: 38400 bytes/workgroup (compile time only)
; SGPRBlocks: 3
; VGPRBlocks: 31
; NumSGPRsForWavesPerEU: 26
; NumVGPRsForWavesPerEU: 250
; Occupancy: 4
; WaveLimiterHint : 1
; COMPUTE_PGM_RSRC2:SCRATCH_EN: 0
; COMPUTE_PGM_RSRC2:USER_SGPR: 6
; COMPUTE_PGM_RSRC2:TRAP_HANDLER: 0
; COMPUTE_PGM_RSRC2:TGID_X_EN: 1
; COMPUTE_PGM_RSRC2:TGID_Y_EN: 0
; COMPUTE_PGM_RSRC2:TGID_Z_EN: 0
; COMPUTE_PGM_RSRC2:TIDIG_COMP_CNT: 0
	.text
	.p2alignl 6, 3214868480
	.fill 48, 4, 3214868480
	.type	__hip_cuid_6b5f7f609c88ff2d,@object ; @__hip_cuid_6b5f7f609c88ff2d
	.section	.bss,"aw",@nobits
	.globl	__hip_cuid_6b5f7f609c88ff2d
__hip_cuid_6b5f7f609c88ff2d:
	.byte	0                               ; 0x0
	.size	__hip_cuid_6b5f7f609c88ff2d, 1

	.ident	"AMD clang version 19.0.0git (https://github.com/RadeonOpenCompute/llvm-project roc-6.4.0 25133 c7fe45cf4b819c5991fe208aaa96edf142730f1d)"
	.section	".note.GNU-stack","",@progbits
	.addrsig
	.addrsig_sym __hip_cuid_6b5f7f609c88ff2d
	.amdgpu_metadata
---
amdhsa.kernels:
  - .args:
      - .actual_access:  read_only
        .address_space:  global
        .offset:         0
        .size:           8
        .value_kind:     global_buffer
      - .actual_access:  read_only
        .address_space:  global
        .offset:         8
        .size:           8
        .value_kind:     global_buffer
      - .actual_access:  read_only
        .address_space:  global
        .offset:         16
        .size:           8
        .value_kind:     global_buffer
      - .actual_access:  read_only
        .address_space:  global
        .offset:         24
        .size:           8
        .value_kind:     global_buffer
      - .actual_access:  read_only
        .address_space:  global
        .offset:         32
        .size:           8
        .value_kind:     global_buffer
      - .offset:         40
        .size:           8
        .value_kind:     by_value
      - .address_space:  global
        .offset:         48
        .size:           8
        .value_kind:     global_buffer
      - .address_space:  global
        .offset:         56
        .size:           8
        .value_kind:     global_buffer
      - .address_space:  global
        .offset:         64
        .size:           8
        .value_kind:     global_buffer
      - .address_space:  global
        .offset:         72
        .size:           8
        .value_kind:     global_buffer
      - .offset:         80
        .size:           4
        .value_kind:     by_value
      - .address_space:  global
        .offset:         88
        .size:           8
        .value_kind:     global_buffer
      - .address_space:  global
        .offset:         96
        .size:           8
        .value_kind:     global_buffer
    .group_segment_fixed_size: 38400
    .kernarg_segment_align: 8
    .kernarg_segment_size: 104
    .language:       OpenCL C
    .language_version:
      - 2
      - 0
    .max_flat_workgroup_size: 240
    .name:           bluestein_single_back_len2400_dim1_dp_op_CI_CI
    .private_segment_fixed_size: 0
    .sgpr_count:     26
    .sgpr_spill_count: 0
    .symbol:         bluestein_single_back_len2400_dim1_dp_op_CI_CI.kd
    .uniform_work_group_size: 1
    .uses_dynamic_stack: false
    .vgpr_count:     250
    .vgpr_spill_count: 0
    .wavefront_size: 32
    .workgroup_processor_mode: 1
amdhsa.target:   amdgcn-amd-amdhsa--gfx1030
amdhsa.version:
  - 1
  - 2
...

	.end_amdgpu_metadata
